;; amdgpu-corpus repo=ROCm/rocFFT kind=compiled arch=gfx906 opt=O3
	.text
	.amdgcn_target "amdgcn-amd-amdhsa--gfx906"
	.amdhsa_code_object_version 6
	.protected	bluestein_single_back_len1071_dim1_sp_op_CI_CI ; -- Begin function bluestein_single_back_len1071_dim1_sp_op_CI_CI
	.globl	bluestein_single_back_len1071_dim1_sp_op_CI_CI
	.p2align	8
	.type	bluestein_single_back_len1071_dim1_sp_op_CI_CI,@function
bluestein_single_back_len1071_dim1_sp_op_CI_CI: ; @bluestein_single_back_len1071_dim1_sp_op_CI_CI
; %bb.0:
	s_load_dwordx4 s[0:3], s[4:5], 0x28
	v_mul_u32_u24_e32 v1, 0x227, v0
	v_add_u32_sdwa v84, s6, v1 dst_sel:DWORD dst_unused:UNUSED_PAD src0_sel:DWORD src1_sel:WORD_1
	v_mov_b32_e32 v85, 0
	s_waitcnt lgkmcnt(0)
	v_cmp_gt_u64_e32 vcc, s[0:1], v[84:85]
	s_and_saveexec_b64 s[0:1], vcc
	s_cbranch_execz .LBB0_23
; %bb.1:
	s_load_dwordx2 s[8:9], s[4:5], 0x0
	s_load_dwordx2 s[10:11], s[4:5], 0x38
	s_movk_i32 s0, 0x77
	v_mul_lo_u16_sdwa v1, v1, s0 dst_sel:DWORD dst_unused:UNUSED_PAD src0_sel:WORD_1 src1_sel:DWORD
	v_sub_u16_e32 v90, v0, v1
	v_cmp_gt_u16_e64 s[0:1], 63, v90
	v_lshlrev_b32_e32 v89, 3, v90
	s_and_saveexec_b64 s[6:7], s[0:1]
	s_cbranch_execz .LBB0_3
; %bb.2:
	s_load_dwordx2 s[12:13], s[4:5], 0x18
	s_waitcnt lgkmcnt(0)
	v_mov_b32_e32 v28, s9
	s_load_dwordx4 s[12:15], s[12:13], 0x0
	s_waitcnt lgkmcnt(0)
	v_mad_u64_u32 v[0:1], s[16:17], s14, v84, 0
	v_mad_u64_u32 v[2:3], s[16:17], s12, v90, 0
	;; [unrolled: 1-line block ×4, first 2 shown]
	v_mov_b32_e32 v1, v4
	v_lshlrev_b64 v[0:1], 3, v[0:1]
	v_mov_b32_e32 v3, v5
	v_mov_b32_e32 v6, s3
	v_lshlrev_b64 v[2:3], 3, v[2:3]
	v_add_co_u32_e32 v0, vcc, s2, v0
	v_addc_co_u32_e32 v1, vcc, v6, v1, vcc
	v_add_co_u32_e32 v0, vcc, v0, v2
	s_mul_i32 s2, s13, 0x1f8
	s_mul_hi_u32 s3, s12, 0x1f8
	v_addc_co_u32_e32 v1, vcc, v1, v3, vcc
	s_add_i32 s3, s3, s2
	s_mul_i32 s2, s12, 0x1f8
	v_mov_b32_e32 v3, s3
	v_add_co_u32_e32 v2, vcc, s2, v0
	v_addc_co_u32_e32 v3, vcc, v1, v3, vcc
	v_mov_b32_e32 v5, s3
	v_add_co_u32_e32 v4, vcc, s2, v2
	v_addc_co_u32_e32 v5, vcc, v3, v5, vcc
	;; [unrolled: 3-line block ×3, first 2 shown]
	v_add_co_u32_e32 v40, vcc, s8, v89
	v_addc_co_u32_e32 v41, vcc, 0, v28, vcc
	global_load_dwordx2 v[8:9], v89, s[8:9]
	global_load_dwordx2 v[10:11], v89, s[8:9] offset:504
	global_load_dwordx2 v[12:13], v89, s[8:9] offset:1008
	;; [unrolled: 1-line block ×3, first 2 shown]
	global_load_dwordx2 v[16:17], v[0:1], off
	global_load_dwordx2 v[18:19], v[2:3], off
	;; [unrolled: 1-line block ×4, first 2 shown]
	v_mov_b32_e32 v28, s3
	v_add_co_u32_e32 v6, vcc, s2, v6
	v_addc_co_u32_e32 v7, vcc, v7, v28, vcc
	global_load_dwordx2 v[0:1], v89, s[8:9] offset:2016
	global_load_dwordx2 v[2:3], v89, s[8:9] offset:2520
	;; [unrolled: 1-line block ×5, first 2 shown]
	v_mov_b32_e32 v30, s3
	global_load_dwordx2 v[28:29], v[6:7], off
	v_add_co_u32_e32 v6, vcc, s2, v6
	v_addc_co_u32_e32 v7, vcc, v7, v30, vcc
	v_mov_b32_e32 v32, s3
	global_load_dwordx2 v[30:31], v[6:7], off
	v_add_co_u32_e32 v6, vcc, s2, v6
	v_addc_co_u32_e32 v7, vcc, v7, v32, vcc
	;; [unrolled: 4-line block ×4, first 2 shown]
	global_load_dwordx2 v[36:37], v[6:7], off
	v_mov_b32_e32 v38, s3
	v_add_co_u32_e32 v6, vcc, s2, v6
	v_addc_co_u32_e32 v7, vcc, v7, v38, vcc
	s_movk_i32 s12, 0x1000
	v_add_co_u32_e32 v40, vcc, s12, v40
	v_addc_co_u32_e32 v41, vcc, 0, v41, vcc
	global_load_dwordx2 v[38:39], v[6:7], off
	v_mov_b32_e32 v42, s3
	v_add_co_u32_e32 v6, vcc, s2, v6
	v_addc_co_u32_e32 v7, vcc, v7, v42, vcc
	global_load_dwordx2 v[42:43], v[6:7], off
	v_mov_b32_e32 v44, s3
	;; [unrolled: 4-line block ×3, first 2 shown]
	v_add_co_u32_e32 v6, vcc, s2, v6
	v_addc_co_u32_e32 v7, vcc, v7, v48, vcc
	global_load_dwordx2 v[46:47], v[40:41], off offset:440
	global_load_dwordx2 v[48:49], v[6:7], off
	global_load_dwordx2 v[50:51], v[40:41], off offset:944
	global_load_dwordx2 v[52:53], v[40:41], off offset:1448
	;; [unrolled: 1-line block ×3, first 2 shown]
	v_mov_b32_e32 v56, s3
	v_add_co_u32_e32 v6, vcc, s2, v6
	v_addc_co_u32_e32 v7, vcc, v7, v56, vcc
	global_load_dwordx2 v[56:57], v[6:7], off
	v_mov_b32_e32 v58, s3
	v_add_co_u32_e32 v6, vcc, s2, v6
	v_addc_co_u32_e32 v7, vcc, v7, v58, vcc
	global_load_dwordx2 v[58:59], v[40:41], off offset:2456
	global_load_dwordx2 v[60:61], v[6:7], off
	global_load_dwordx2 v[62:63], v[40:41], off offset:2960
	v_mov_b32_e32 v64, s3
	v_add_co_u32_e32 v6, vcc, s2, v6
	v_addc_co_u32_e32 v7, vcc, v7, v64, vcc
	v_mov_b32_e32 v68, s3
	global_load_dwordx2 v[64:65], v[6:7], off
	global_load_dwordx2 v[66:67], v[40:41], off offset:3464
	v_add_co_u32_e32 v6, vcc, s2, v6
	v_addc_co_u32_e32 v7, vcc, v7, v68, vcc
	global_load_dwordx2 v[68:69], v[6:7], off
	global_load_dwordx2 v[70:71], v[40:41], off offset:3968
	s_waitcnt vmcnt(29)
	v_mul_f32_e32 v6, v17, v9
	v_mul_f32_e32 v7, v16, v9
	v_fmac_f32_e32 v6, v16, v8
	v_fma_f32 v7, v17, v8, -v7
	s_waitcnt vmcnt(28)
	v_mul_f32_e32 v8, v19, v11
	v_mul_f32_e32 v9, v18, v11
	v_fmac_f32_e32 v8, v18, v10
	v_fma_f32 v9, v19, v10, -v9
	s_waitcnt vmcnt(27)
	v_mul_f32_e32 v10, v21, v13
	v_mul_f32_e32 v11, v20, v13
	ds_write2_b64 v89, v[6:7], v[8:9] offset1:63
	s_waitcnt vmcnt(26)
	v_mul_f32_e32 v6, v23, v15
	v_mul_f32_e32 v7, v22, v15
	v_fmac_f32_e32 v10, v20, v12
	v_fma_f32 v11, v21, v12, -v11
	v_fmac_f32_e32 v6, v22, v14
	v_fma_f32 v7, v23, v14, -v7
	ds_write2_b64 v89, v[10:11], v[6:7] offset0:126 offset1:189
	s_waitcnt vmcnt(20)
	v_mul_f32_e32 v6, v29, v1
	v_mul_f32_e32 v1, v28, v1
	v_fmac_f32_e32 v6, v28, v0
	v_fma_f32 v7, v29, v0, -v1
	s_waitcnt vmcnt(19)
	v_mul_f32_e32 v0, v31, v3
	v_mul_f32_e32 v1, v30, v3
	v_fmac_f32_e32 v0, v30, v2
	v_fma_f32 v1, v31, v2, -v1
	v_add_u32_e32 v2, 0x400, v89
	ds_write2_b64 v2, v[6:7], v[0:1] offset0:124 offset1:187
	s_waitcnt vmcnt(18)
	v_mul_f32_e32 v0, v33, v5
	v_mul_f32_e32 v1, v32, v5
	s_waitcnt vmcnt(17)
	v_mul_f32_e32 v2, v35, v25
	v_mul_f32_e32 v3, v34, v25
	v_fmac_f32_e32 v0, v32, v4
	v_fma_f32 v1, v33, v4, -v1
	v_fmac_f32_e32 v2, v34, v24
	v_fma_f32 v3, v35, v24, -v3
	v_add_u32_e32 v4, 0x800, v89
	ds_write2_b64 v4, v[0:1], v[2:3] offset0:122 offset1:185
	s_waitcnt vmcnt(16)
	v_mul_f32_e32 v0, v37, v27
	v_mul_f32_e32 v1, v36, v27
	v_fmac_f32_e32 v0, v36, v26
	v_fma_f32 v1, v37, v26, -v1
	v_add_u32_e32 v4, 0xc00, v89
	s_waitcnt vmcnt(12)
	v_mul_f32_e32 v2, v39, v47
	v_mul_f32_e32 v3, v38, v47
	v_fmac_f32_e32 v2, v38, v46
	v_fma_f32 v3, v39, v46, -v3
	ds_write2_b64 v4, v[0:1], v[2:3] offset0:120 offset1:183
	s_waitcnt vmcnt(10)
	v_mul_f32_e32 v0, v43, v51
	v_mul_f32_e32 v1, v42, v51
	s_waitcnt vmcnt(9)
	v_mul_f32_e32 v2, v45, v53
	v_mul_f32_e32 v3, v44, v53
	v_fmac_f32_e32 v0, v42, v50
	v_fma_f32 v1, v43, v50, -v1
	v_fmac_f32_e32 v2, v44, v52
	v_fma_f32 v3, v45, v52, -v3
	v_add_u32_e32 v4, 0x1000, v89
	ds_write2_b64 v4, v[0:1], v[2:3] offset0:118 offset1:181
	s_waitcnt vmcnt(8)
	v_mul_f32_e32 v0, v49, v55
	v_mul_f32_e32 v1, v48, v55
	s_waitcnt vmcnt(6)
	v_mul_f32_e32 v2, v57, v59
	v_mul_f32_e32 v3, v56, v59
	v_fmac_f32_e32 v0, v48, v54
	v_fma_f32 v1, v49, v54, -v1
	v_fmac_f32_e32 v2, v56, v58
	v_fma_f32 v3, v57, v58, -v3
	v_add_u32_e32 v4, 0x1400, v89
	;; [unrolled: 12-line block ×3, first 2 shown]
	ds_write2_b64 v4, v[0:1], v[2:3] offset0:114 offset1:177
	s_waitcnt vmcnt(0)
	v_mul_f32_e32 v0, v69, v71
	v_mul_f32_e32 v1, v68, v71
	v_fmac_f32_e32 v0, v68, v70
	v_fma_f32 v1, v69, v70, -v1
	ds_write_b64 v89, v[0:1] offset:8064
.LBB0_3:
	s_or_b64 exec, exec, s[6:7]
	v_mov_b32_e32 v4, 0
	v_mov_b32_e32 v5, 0
	s_waitcnt lgkmcnt(0)
	s_barrier
	s_waitcnt lgkmcnt(0)
                                        ; implicit-def: $vgpr8
                                        ; implicit-def: $vgpr28
                                        ; implicit-def: $vgpr32
                                        ; implicit-def: $vgpr36
                                        ; implicit-def: $vgpr26
                                        ; implicit-def: $vgpr22
                                        ; implicit-def: $vgpr18
                                        ; implicit-def: $vgpr14
	s_and_saveexec_b64 s[2:3], s[0:1]
	s_cbranch_execz .LBB0_5
; %bb.4:
	v_add_u32_e32 v0, 0x400, v89
	ds_read2_b64 v[4:7], v89 offset1:63
	ds_read2_b64 v[12:15], v89 offset0:126 offset1:189
	ds_read2_b64 v[16:19], v0 offset0:124 offset1:187
	v_add_u32_e32 v0, 0x800, v89
	ds_read2_b64 v[20:23], v0 offset0:122 offset1:185
	v_add_u32_e32 v0, 0xc00, v89
	;; [unrolled: 2-line block ×5, first 2 shown]
	ds_read2_b64 v[32:35], v0 offset0:114 offset1:177
	ds_read_b64 v[36:37], v89 offset:8064
.LBB0_5:
	s_or_b64 exec, exec, s[2:3]
	s_waitcnt lgkmcnt(0)
	v_sub_f32_e32 v51, v7, v37
	v_mul_f32_e32 v38, 0xbeb8f4ab, v51
	v_sub_f32_e32 v53, v13, v35
	v_add_f32_e32 v60, v36, v6
	v_sub_f32_e32 v50, v6, v36
	v_mov_b32_e32 v0, v38
	v_mul_f32_e32 v54, 0xbf2c7751, v53
	v_add_f32_e32 v61, v37, v7
	s_mov_b32 s3, 0x3f6eb680
	v_mul_f32_e32 v39, 0xbeb8f4ab, v50
	v_fmac_f32_e32 v0, 0x3f6eb680, v60
	v_add_f32_e32 v64, v34, v12
	v_sub_f32_e32 v52, v12, v34
	v_mov_b32_e32 v2, v54
	v_add_f32_e32 v0, v0, v4
	v_fma_f32 v1, v61, s3, -v39
	s_mov_b32 s6, 0x3f3d2fb0
	v_add_f32_e32 v65, v35, v13
	v_mul_f32_e32 v55, 0xbf2c7751, v52
	v_fmac_f32_e32 v2, 0x3f3d2fb0, v64
	v_sub_f32_e32 v77, v15, v33
	v_add_f32_e32 v1, v1, v5
	v_add_f32_e32 v0, v2, v0
	v_fma_f32 v2, v65, s6, -v55
	v_mul_f32_e32 v56, 0xbf65296c, v77
	v_add_f32_e32 v1, v2, v1
	v_add_f32_e32 v68, v32, v14
	v_sub_f32_e32 v76, v14, v32
	v_mov_b32_e32 v2, v56
	s_mov_b32 s7, 0x3ee437d1
	v_add_f32_e32 v69, v33, v15
	v_mul_f32_e32 v57, 0xbf65296c, v76
	v_fmac_f32_e32 v2, 0x3ee437d1, v68
	v_sub_f32_e32 v87, v17, v31
	v_add_f32_e32 v0, v2, v0
	v_fma_f32 v2, v69, s7, -v57
	v_mul_f32_e32 v58, 0xbf7ee86f, v87
	v_add_f32_e32 v1, v2, v1
	v_add_f32_e32 v71, v30, v16
	v_mov_b32_e32 v2, v58
	v_sub_f32_e32 v91, v16, v30
	s_mov_b32 s2, 0x3dbcf732
	v_add_f32_e32 v72, v31, v17
	v_fmac_f32_e32 v2, 0x3dbcf732, v71
	v_mul_f32_e32 v59, 0xbf7ee86f, v91
	v_sub_f32_e32 v107, v19, v29
	v_add_f32_e32 v0, v2, v0
	v_fma_f32 v2, v72, s2, -v59
	v_mul_f32_e32 v62, 0xbf763a35, v107
	v_add_f32_e32 v1, v2, v1
	v_add_f32_e32 v75, v28, v18
	v_mov_b32_e32 v2, v62
	v_sub_f32_e32 v108, v18, v28
	v_fmac_f32_e32 v2, 0xbe8c1d8e, v75
	s_mov_b32 s12, 0xbe8c1d8e
	v_add_f32_e32 v78, v29, v19
	v_mul_f32_e32 v63, 0xbf763a35, v108
	v_sub_f32_e32 v127, v21, v11
	v_add_f32_e32 v0, v2, v0
	v_fma_f32 v2, v78, s12, -v63
	v_mul_f32_e32 v66, 0xbf4c4adb, v127
	v_add_f32_e32 v1, v2, v1
	v_add_f32_e32 v82, v10, v20
	v_mov_b32_e32 v2, v66
	v_sub_f32_e32 v128, v20, v10
	v_fmac_f32_e32 v2, 0xbf1a4643, v82
	s_mov_b32 s13, 0xbf1a4643
	v_add_f32_e32 v92, v11, v21
	;; [unrolled: 12-line block ×3, first 2 shown]
	v_mul_f32_e32 v73, 0xbf06c442, v178
	v_sub_f32_e32 v179, v25, v27
	v_add_f32_e32 v0, v2, v0
	v_fma_f32 v2, v106, s14, -v73
	v_mul_f32_e32 v74, 0xbe3c28d5, v179
	v_add_f32_e32 v1, v2, v1
	v_add_f32_e32 v117, v26, v24
	v_mov_b32_e32 v2, v74
	v_sub_f32_e32 v180, v24, v26
	s_mov_b32 s15, 0xbf7ba420
	v_fmac_f32_e32 v2, 0xbf7ba420, v117
	v_add_f32_e32 v120, v27, v25
	v_mul_f32_e32 v79, 0xbe3c28d5, v180
	v_add_f32_e32 v85, v2, v0
	v_fma_f32 v0, v120, s15, -v79
	v_mul_f32_e32 v80, 0xbf2c7751, v51
	v_add_f32_e32 v86, v0, v1
	v_mov_b32_e32 v0, v80
	v_mul_f32_e32 v81, 0xbf7ee86f, v53
	v_fmac_f32_e32 v0, 0x3f3d2fb0, v60
	v_mov_b32_e32 v1, v81
	v_add_f32_e32 v0, v0, v4
	v_fmac_f32_e32 v1, 0x3dbcf732, v64
	v_mul_f32_e32 v94, 0xbf2c7751, v50
	v_add_f32_e32 v0, v1, v0
	v_fma_f32 v1, v61, s6, -v94
	v_mul_f32_e32 v95, 0xbf7ee86f, v52
	v_add_f32_e32 v1, v1, v5
	v_fma_f32 v2, v65, s2, -v95
	v_mul_f32_e32 v83, 0xbf4c4adb, v77
	v_add_f32_e32 v1, v2, v1
	v_mov_b32_e32 v2, v83
	v_fmac_f32_e32 v2, 0xbf1a4643, v68
	v_mul_f32_e32 v97, 0xbf4c4adb, v76
	v_add_f32_e32 v0, v2, v0
	v_fma_f32 v2, v69, s13, -v97
	v_mul_f32_e32 v88, 0xbe3c28d5, v87
	v_add_f32_e32 v1, v2, v1
	v_mov_b32_e32 v2, v88
	v_fmac_f32_e32 v2, 0xbf7ba420, v71
	;; [unrolled: 7-line block ×6, first 2 shown]
	v_mul_f32_e32 v104, 0x3eb8f4ab, v180
	v_mul_f32_e32 v109, 0xbf65296c, v51
	v_fma_f32 v3, v120, s3, -v104
	v_add_f32_e32 v2, v2, v0
	v_mov_b32_e32 v0, v109
	v_mul_f32_e32 v110, 0xbf4c4adb, v53
	v_add_f32_e32 v3, v3, v1
	v_fmac_f32_e32 v0, 0x3ee437d1, v60
	v_mov_b32_e32 v1, v110
	v_add_f32_e32 v0, v0, v4
	v_fmac_f32_e32 v1, 0xbf1a4643, v64
	v_mul_f32_e32 v111, 0x3e3c28d5, v77
	v_add_f32_e32 v0, v1, v0
	v_mov_b32_e32 v1, v111
	v_fmac_f32_e32 v1, 0xbf7ba420, v68
	v_mul_f32_e32 v112, 0x3f763a35, v87
	v_add_f32_e32 v0, v1, v0
	v_mov_b32_e32 v1, v112
	;; [unrolled: 4-line block ×6, first 2 shown]
	v_fmac_f32_e32 v1, 0xbf59a7d5, v117
	v_mul_f32_e32 v118, 0xbf65296c, v50
	v_add_f32_e32 v0, v1, v0
	v_fma_f32 v1, v61, s7, -v118
	v_mul_f32_e32 v119, 0xbf4c4adb, v52
	v_add_f32_e32 v1, v1, v5
	v_fma_f32 v40, v65, s13, -v119
	;; [unrolled: 3-line block ×8, first 2 shown]
	v_mul_f32_e32 v129, 0xbf7ee86f, v51
	v_add_f32_e32 v1, v40, v1
	v_mov_b32_e32 v40, v129
	v_mul_f32_e32 v130, 0xbe3c28d5, v53
	v_fmac_f32_e32 v40, 0x3dbcf732, v60
	v_mov_b32_e32 v41, v130
	v_add_f32_e32 v40, v40, v4
	v_fmac_f32_e32 v41, 0xbf7ba420, v64
	v_mul_f32_e32 v134, 0xbf7ee86f, v50
	v_add_f32_e32 v40, v41, v40
	v_fma_f32 v41, v61, s2, -v134
	v_mul_f32_e32 v135, 0xbe3c28d5, v52
	v_add_f32_e32 v41, v41, v5
	v_fma_f32 v42, v65, s15, -v135
	v_mul_f32_e32 v131, 0x3f763a35, v77
	v_add_f32_e32 v41, v42, v41
	v_mov_b32_e32 v42, v131
	v_fmac_f32_e32 v42, 0xbe8c1d8e, v68
	v_mul_f32_e32 v137, 0x3f763a35, v76
	v_add_f32_e32 v40, v42, v40
	v_fma_f32 v42, v69, s12, -v137
	v_mul_f32_e32 v132, 0x3eb8f4ab, v87
	v_add_f32_e32 v41, v42, v41
	v_mov_b32_e32 v42, v132
	v_fmac_f32_e32 v42, 0x3f6eb680, v71
	v_mul_f32_e32 v139, 0x3eb8f4ab, v91
	v_add_f32_e32 v40, v42, v40
	v_fma_f32 v42, v72, s3, -v139
	v_mul_f32_e32 v133, 0xbf65296c, v107
	v_add_f32_e32 v41, v42, v41
	v_mov_b32_e32 v42, v133
	v_fmac_f32_e32 v42, 0x3ee437d1, v75
	v_mul_f32_e32 v141, 0xbf65296c, v108
	v_add_f32_e32 v40, v42, v40
	v_fma_f32 v42, v78, s7, -v141
	v_mul_f32_e32 v136, 0xbf06c442, v127
	v_add_f32_e32 v41, v42, v41
	v_mov_b32_e32 v42, v136
	v_fmac_f32_e32 v42, 0xbf59a7d5, v82
	v_mul_f32_e32 v142, 0xbf06c442, v128
	v_add_f32_e32 v40, v42, v40
	v_fma_f32 v42, v92, s14, -v142
	v_mul_f32_e32 v138, 0x3f4c4adb, v177
	v_add_f32_e32 v41, v42, v41
	v_mov_b32_e32 v42, v138
	v_fmac_f32_e32 v42, 0xbf1a4643, v105
	v_mul_f32_e32 v143, 0x3f4c4adb, v178
	v_add_f32_e32 v40, v42, v40
	v_fma_f32 v42, v106, s13, -v143
	v_mul_f32_e32 v140, 0x3f2c7751, v179
	v_add_f32_e32 v41, v42, v41
	v_mov_b32_e32 v42, v140
	v_fmac_f32_e32 v42, 0x3f3d2fb0, v117
	v_mul_f32_e32 v144, 0x3f2c7751, v180
	v_add_f32_e32 v40, v42, v40
	v_fma_f32 v42, v120, s6, -v144
	v_mul_f32_e32 v145, 0xbf763a35, v51
	v_add_f32_e32 v41, v42, v41
	v_mov_b32_e32 v42, v145
	v_mul_f32_e32 v146, 0x3f06c442, v53
	v_fmac_f32_e32 v42, 0xbe8c1d8e, v60
	v_mov_b32_e32 v43, v146
	v_add_f32_e32 v42, v42, v4
	v_fmac_f32_e32 v43, 0xbf59a7d5, v64
	v_mul_f32_e32 v150, 0xbf763a35, v50
	v_add_f32_e32 v42, v43, v42
	v_fma_f32 v43, v61, s12, -v150
	v_mul_f32_e32 v151, 0x3f06c442, v52
	v_add_f32_e32 v43, v43, v5
	v_fma_f32 v44, v65, s14, -v151
	v_mul_f32_e32 v147, 0x3f2c7751, v77
	v_add_f32_e32 v43, v44, v43
	v_mov_b32_e32 v44, v147
	v_fmac_f32_e32 v44, 0x3f3d2fb0, v68
	v_mul_f32_e32 v153, 0x3f2c7751, v76
	v_add_f32_e32 v42, v44, v42
	v_fma_f32 v44, v69, s6, -v153
	v_mul_f32_e32 v148, 0xbf65296c, v87
	v_add_f32_e32 v43, v44, v43
	v_mov_b32_e32 v44, v148
	v_fmac_f32_e32 v44, 0x3ee437d1, v71
	v_mul_f32_e32 v155, 0xbf65296c, v91
	v_add_f32_e32 v42, v44, v42
	v_fma_f32 v44, v72, s7, -v155
	v_mul_f32_e32 v149, 0xbe3c28d5, v107
	v_add_f32_e32 v43, v44, v43
	v_mov_b32_e32 v44, v149
	v_fmac_f32_e32 v44, 0xbf7ba420, v75
	v_mul_f32_e32 v157, 0xbe3c28d5, v108
	v_add_f32_e32 v42, v44, v42
	v_fma_f32 v44, v78, s15, -v157
	v_mul_f32_e32 v152, 0x3f7ee86f, v127
	v_add_f32_e32 v43, v44, v43
	v_mov_b32_e32 v44, v152
	v_fmac_f32_e32 v44, 0x3dbcf732, v82
	v_mul_f32_e32 v158, 0x3f7ee86f, v128
	v_add_f32_e32 v42, v44, v42
	v_fma_f32 v44, v92, s2, -v158
	v_mul_f32_e32 v154, 0xbeb8f4ab, v177
	v_add_f32_e32 v43, v44, v43
	v_mov_b32_e32 v44, v154
	v_fmac_f32_e32 v44, 0x3f6eb680, v105
	v_mul_f32_e32 v159, 0xbeb8f4ab, v178
	v_add_f32_e32 v42, v44, v42
	v_fma_f32 v44, v106, s3, -v159
	v_mul_f32_e32 v156, 0xbf4c4adb, v179
	v_add_f32_e32 v43, v44, v43
	v_mov_b32_e32 v44, v156
	v_fmac_f32_e32 v44, 0xbf1a4643, v117
	v_mul_f32_e32 v160, 0xbf4c4adb, v180
	v_add_f32_e32 v44, v44, v42
	v_fma_f32 v42, v120, s13, -v160
	;; [unrolled: 56-line block ×3, first 2 shown]
	v_mul_f32_e32 v48, 0xbf06c442, v51
	v_add_f32_e32 v47, v42, v43
	v_fma_f32 v42, v60, s14, -v48
	v_mul_f32_e32 v49, 0x3f65296c, v53
	v_add_f32_e32 v42, v42, v4
	v_fma_f32 v43, v64, s7, -v49
	v_mul_f32_e32 v181, 0xbf06c442, v50
	v_add_f32_e32 v42, v43, v42
	v_mov_b32_e32 v43, v181
	v_mul_f32_e32 v182, 0x3f65296c, v52
	v_fmac_f32_e32 v43, 0xbf59a7d5, v61
	v_mov_b32_e32 v183, v182
	v_add_f32_e32 v43, v43, v5
	v_fmac_f32_e32 v183, 0x3ee437d1, v65
	v_add_f32_e32 v43, v183, v43
	v_mul_f32_e32 v183, 0xbf7ee86f, v77
	v_fma_f32 v184, v68, s2, -v183
	v_add_f32_e32 v42, v184, v42
	v_mul_f32_e32 v184, 0xbf7ee86f, v76
	v_mov_b32_e32 v185, v184
	v_fmac_f32_e32 v185, 0x3dbcf732, v69
	v_add_f32_e32 v43, v185, v43
	v_mul_f32_e32 v185, 0x3f4c4adb, v87
	v_fma_f32 v186, v71, s13, -v185
	v_add_f32_e32 v42, v186, v42
	v_mul_f32_e32 v186, 0x3f4c4adb, v91
	v_mov_b32_e32 v187, v186
	v_fmac_f32_e32 v187, 0xbf1a4643, v72
	v_add_f32_e32 v43, v187, v43
	v_mul_f32_e32 v187, 0xbeb8f4ab, v107
	v_fma_f32 v188, v75, s3, -v187
	v_add_f32_e32 v42, v188, v42
	v_mul_f32_e32 v188, 0xbeb8f4ab, v108
	v_mov_b32_e32 v189, v188
	v_fmac_f32_e32 v189, 0x3f6eb680, v78
	v_add_f32_e32 v43, v189, v43
	v_mul_f32_e32 v189, 0xbe3c28d5, v127
	v_fma_f32 v190, v82, s15, -v189
	v_add_f32_e32 v42, v190, v42
	v_mul_f32_e32 v190, 0xbe3c28d5, v128
	v_mov_b32_e32 v191, v190
	v_fmac_f32_e32 v191, 0xbf7ba420, v92
	v_fmac_f32_e32 v48, 0xbf59a7d5, v60
	v_add_f32_e32 v43, v191, v43
	v_mul_f32_e32 v191, 0x3f2c7751, v177
	v_add_f32_e32 v48, v48, v4
	v_fmac_f32_e32 v49, 0x3ee437d1, v64
	v_fma_f32 v192, v105, s6, -v191
	v_add_f32_e32 v48, v49, v48
	v_fma_f32 v49, v61, s14, -v181
	v_add_f32_e32 v42, v192, v42
	v_mul_f32_e32 v192, 0x3f2c7751, v178
	v_add_f32_e32 v49, v49, v5
	v_fma_f32 v181, v65, s7, -v182
	v_mov_b32_e32 v193, v192
	v_add_f32_e32 v49, v181, v49
	v_fma_f32 v181, v69, s2, -v184
	v_fmac_f32_e32 v193, 0x3f3d2fb0, v106
	v_add_f32_e32 v49, v181, v49
	v_fma_f32 v181, v72, s13, -v186
	v_add_f32_e32 v43, v193, v43
	v_mul_f32_e32 v193, 0xbf763a35, v179
	v_add_f32_e32 v49, v181, v49
	v_fma_f32 v181, v78, s3, -v188
	v_fma_f32 v194, v117, s12, -v193
	v_add_f32_e32 v49, v181, v49
	v_fma_f32 v181, v92, s15, -v190
	v_add_f32_e32 v42, v194, v42
	v_mul_f32_e32 v194, 0xbf763a35, v180
	v_add_f32_e32 v49, v181, v49
	v_fma_f32 v181, v106, s6, -v192
	v_add_f32_e32 v49, v181, v49
	v_fma_f32 v181, v120, s12, -v194
	v_add_f32_e32 v49, v181, v49
	v_mul_f32_e32 v181, 0xbe3c28d5, v51
	v_fma_f32 v51, v60, s15, -v181
	v_mul_f32_e32 v53, 0x3eb8f4ab, v53
	v_add_f32_e32 v51, v51, v4
	v_fma_f32 v182, v64, s3, -v53
	v_add_f32_e32 v51, v182, v51
	v_mul_f32_e32 v182, 0xbe3c28d5, v50
	v_fmac_f32_e32 v183, 0x3dbcf732, v68
	v_mov_b32_e32 v50, v182
	v_mul_f32_e32 v52, 0x3eb8f4ab, v52
	v_add_f32_e32 v48, v183, v48
	v_fmac_f32_e32 v50, 0xbf7ba420, v61
	v_mov_b32_e32 v183, v52
	v_add_f32_e32 v50, v50, v5
	v_fmac_f32_e32 v183, 0x3f6eb680, v65
	v_mul_f32_e32 v77, 0xbf06c442, v77
	v_add_f32_e32 v50, v183, v50
	v_fma_f32 v183, v68, s14, -v77
	v_mul_f32_e32 v76, 0xbf06c442, v76
	v_add_f32_e32 v51, v183, v51
	v_mov_b32_e32 v183, v76
	v_fmac_f32_e32 v183, 0xbf59a7d5, v69
	v_mul_f32_e32 v87, 0x3f2c7751, v87
	v_add_f32_e32 v50, v183, v50
	v_fma_f32 v183, v71, s6, -v87
	v_mul_f32_e32 v91, 0x3f2c7751, v91
	v_add_f32_e32 v51, v183, v51
	v_mov_b32_e32 v183, v91
	v_fmac_f32_e32 v183, 0x3f3d2fb0, v72
	v_mul_f32_e32 v107, 0xbf4c4adb, v107
	v_add_f32_e32 v50, v183, v50
	v_fma_f32 v183, v75, s13, -v107
	v_mul_f32_e32 v108, 0xbf4c4adb, v108
	v_fmac_f32_e32 v181, 0xbf7ba420, v60
	v_add_f32_e32 v51, v183, v51
	v_mov_b32_e32 v183, v108
	v_add_f32_e32 v181, v181, v4
	v_fmac_f32_e32 v53, 0x3f6eb680, v64
	v_fmac_f32_e32 v183, 0xbf1a4643, v78
	v_mul_f32_e32 v127, 0x3f65296c, v127
	v_add_f32_e32 v53, v53, v181
	v_fma_f32 v181, v61, s15, -v182
	v_add_f32_e32 v50, v183, v50
	v_fma_f32 v183, v82, s7, -v127
	v_mul_f32_e32 v128, 0x3f65296c, v128
	v_add_f32_e32 v181, v181, v5
	v_fma_f32 v52, v65, s3, -v52
	v_add_f32_e32 v51, v183, v51
	v_mov_b32_e32 v183, v128
	v_add_f32_e32 v52, v52, v181
	v_fma_f32 v76, v69, s14, -v76
	v_fmac_f32_e32 v183, 0x3ee437d1, v92
	v_mul_f32_e32 v177, 0xbf763a35, v177
	v_fmac_f32_e32 v77, 0xbf59a7d5, v68
	v_add_f32_e32 v52, v76, v52
	v_fma_f32 v76, v72, s6, -v91
	v_add_f32_e32 v50, v183, v50
	v_fma_f32 v183, v105, s12, -v177
	v_mul_f32_e32 v178, 0xbf763a35, v178
	v_add_f32_e32 v53, v77, v53
	v_fmac_f32_e32 v87, 0x3f3d2fb0, v71
	v_add_f32_e32 v52, v76, v52
	v_fma_f32 v76, v78, s13, -v108
	v_fmac_f32_e32 v185, 0xbf1a4643, v71
	v_add_f32_e32 v51, v183, v51
	v_mov_b32_e32 v183, v178
	v_add_f32_e32 v53, v87, v53
	v_fmac_f32_e32 v107, 0xbf1a4643, v75
	v_add_f32_e32 v52, v76, v52
	v_fma_f32 v76, v92, s7, -v128
	v_add_f32_e32 v48, v185, v48
	v_fmac_f32_e32 v187, 0x3f6eb680, v75
	v_fmac_f32_e32 v183, 0xbe8c1d8e, v106
	v_mul_f32_e32 v179, 0x3f7ee86f, v179
	v_add_f32_e32 v53, v107, v53
	v_fmac_f32_e32 v127, 0x3ee437d1, v82
	v_add_f32_e32 v52, v76, v52
	v_fma_f32 v76, v106, s12, -v178
	s_load_dwordx2 s[6:7], s[4:5], 0x20
	s_load_dwordx2 s[12:13], s[4:5], 0x8
	v_add_f32_e32 v48, v187, v48
	v_fmac_f32_e32 v189, 0xbf7ba420, v82
	v_add_f32_e32 v183, v183, v50
	v_fma_f32 v50, v117, s2, -v179
	v_mul_f32_e32 v180, 0x3f7ee86f, v180
	v_add_f32_e32 v53, v127, v53
	v_fmac_f32_e32 v177, 0xbe8c1d8e, v105
	v_mov_b32_e32 v195, v194
	v_add_f32_e32 v48, v189, v48
	v_fmac_f32_e32 v191, 0x3f3d2fb0, v105
	v_add_f32_e32 v50, v50, v51
	v_mov_b32_e32 v51, v180
	v_add_f32_e32 v53, v177, v53
	v_fmac_f32_e32 v179, 0x3dbcf732, v117
	v_fmac_f32_e32 v195, 0xbe8c1d8e, v120
	v_add_f32_e32 v48, v191, v48
	v_fmac_f32_e32 v193, 0xbe8c1d8e, v117
	v_fmac_f32_e32 v51, 0x3dbcf732, v120
	v_add_f32_e32 v76, v76, v52
	v_add_f32_e32 v52, v179, v53
	v_fma_f32 v53, v120, s2, -v180
	v_add_f32_e32 v43, v195, v43
	v_add_f32_e32 v48, v193, v48
	;; [unrolled: 1-line block ×4, first 2 shown]
	v_mul_lo_u16_e32 v91, 17, v90
	s_waitcnt lgkmcnt(0)
	s_barrier
	s_and_saveexec_b64 s[2:3], s[0:1]
	s_cbranch_execz .LBB0_7
; %bb.6:
	v_mul_f32_e32 v77, 0x3f6eb680, v60
	v_mul_f32_e32 v107, 0x3f3d2fb0, v60
	;; [unrolled: 1-line block ×18, first 2 shown]
	v_sub_f32_e32 v60, v60, v161
	v_mul_f32_e32 v181, 0x3f3d2fb0, v65
	v_mul_f32_e32 v183, 0x3dbcf732, v65
	;; [unrolled: 1-line block ×12, first 2 shown]
	v_add_f32_e32 v61, v166, v61
	v_add_f32_e32 v60, v60, v4
	v_sub_f32_e32 v64, v64, v162
	v_mul_f32_e32 v191, 0x3ee437d1, v69
	v_mul_f32_e32 v193, 0xbf1a4643, v69
	v_mul_f32_e32 v195, 0xbf7ba420, v69
	v_mul_f32_e32 v197, 0xbe8c1d8e, v69
	v_mul_f32_e32 v199, 0x3f3d2fb0, v69
	v_mul_f32_e32 v69, 0x3f6eb680, v69
	v_mul_f32_e32 v200, 0x3dbcf732, v71
	v_mul_f32_e32 v202, 0xbf7ba420, v71
	v_mul_f32_e32 v204, 0xbe8c1d8e, v71
	v_mul_f32_e32 v206, 0x3f6eb680, v71
	v_mul_f32_e32 v208, 0x3ee437d1, v71
	v_mul_f32_e32 v71, 0xbf59a7d5, v71
	v_add_f32_e32 v61, v61, v5
	v_add_f32_e32 v65, v167, v65
	v_add_f32_e32 v60, v64, v60
	v_sub_f32_e32 v64, v68, v163
	v_mul_f32_e32 v201, 0x3dbcf732, v72
	v_mul_f32_e32 v203, 0xbf7ba420, v72
	v_mul_f32_e32 v205, 0xbe8c1d8e, v72
	v_mul_f32_e32 v207, 0x3f6eb680, v72
	v_mul_f32_e32 v209, 0x3ee437d1, v72
	v_mul_f32_e32 v72, 0xbf59a7d5, v72
	v_mul_f32_e32 v210, 0xbe8c1d8e, v75
	v_mul_f32_e32 v212, 0xbf59a7d5, v75
	v_mul_f32_e32 v214, 0x3f3d2fb0, v75
	v_mul_f32_e32 v216, 0x3ee437d1, v75
	v_mul_f32_e32 v218, 0xbf7ba420, v75
	v_mul_f32_e32 v75, 0x3dbcf732, v75
	v_add_f32_e32 v61, v65, v61
	v_add_f32_e32 v65, v169, v69
	v_add_f32_e32 v60, v64, v60
	v_sub_f32_e32 v64, v71, v164
	v_mul_f32_e32 v211, 0xbe8c1d8e, v78
	v_mul_f32_e32 v213, 0xbf59a7d5, v78
	v_mul_f32_e32 v215, 0x3f3d2fb0, v78
	v_mul_f32_e32 v217, 0x3ee437d1, v78
	v_mul_f32_e32 v219, 0xbf7ba420, v78
	v_mul_f32_e32 v78, 0x3dbcf732, v78
	v_mul_f32_e32 v220, 0xbf1a4643, v82
	v_mul_f32_e32 v222, 0xbe8c1d8e, v82
	v_mul_f32_e32 v224, 0x3f6eb680, v82
	v_mul_f32_e32 v226, 0xbf59a7d5, v82
	v_mul_f32_e32 v228, 0x3dbcf732, v82
	v_mul_f32_e32 v82, 0x3f3d2fb0, v82
	v_add_f32_e32 v61, v65, v61
	v_add_f32_e32 v65, v171, v72
	v_add_f32_e32 v60, v64, v60
	v_sub_f32_e32 v64, v75, v165
	v_mul_f32_e32 v221, 0xbf1a4643, v92
	v_mul_f32_e32 v223, 0xbe8c1d8e, v92
	v_mul_f32_e32 v225, 0x3f6eb680, v92
	v_mul_f32_e32 v227, 0xbf59a7d5, v92
	v_mul_f32_e32 v229, 0x3dbcf732, v92
	v_mul_f32_e32 v92, 0x3f3d2fb0, v92
	v_mul_f32_e32 v230, 0xbf59a7d5, v105
	v_mul_f32_e32 v232, 0x3ee437d1, v105
	v_mul_f32_e32 v234, 0x3dbcf732, v105
	v_mul_f32_e32 v236, 0xbf1a4643, v105
	v_mul_f32_e32 v238, 0x3f6eb680, v105
	v_mul_f32_e32 v105, 0xbf7ba420, v105
	v_add_f32_e32 v61, v65, v61
	v_add_f32_e32 v65, v173, v78
	v_add_f32_e32 v60, v64, v60
	v_sub_f32_e32 v64, v82, v168
	v_mul_f32_e32 v231, 0xbf59a7d5, v106
	v_mul_f32_e32 v233, 0x3ee437d1, v106
	v_mul_f32_e32 v235, 0x3dbcf732, v106
	v_mul_f32_e32 v237, 0xbf1a4643, v106
	v_mul_f32_e32 v239, 0x3f6eb680, v106
	v_mul_f32_e32 v106, 0xbf7ba420, v106
	v_mul_f32_e32 v240, 0xbf7ba420, v117
	v_mul_f32_e32 v242, 0x3f6eb680, v117
	v_mul_f32_e32 v244, 0xbf59a7d5, v117
	v_mul_f32_e32 v246, 0x3f3d2fb0, v117
	v_mul_f32_e32 v248, 0xbf1a4643, v117
	v_mul_f32_e32 v117, 0x3ee437d1, v117
	v_add_f32_e32 v61, v65, v61
	v_add_f32_e32 v65, v174, v92
	v_add_f32_e32 v60, v64, v60
	v_sub_f32_e32 v64, v105, v170
	v_mul_f32_e32 v241, 0xbf7ba420, v120
	v_mul_f32_e32 v243, 0x3f6eb680, v120
	;; [unrolled: 1-line block ×6, first 2 shown]
	v_add_f32_e32 v61, v65, v61
	v_add_f32_e32 v65, v175, v106
	v_add_f32_e32 v60, v64, v60
	v_sub_f32_e32 v64, v117, v172
	v_add_f32_e32 v61, v65, v61
	v_add_f32_e32 v65, v176, v120
	;; [unrolled: 1-line block ×20, first 2 shown]
	v_sub_f32_e32 v64, v178, v145
	v_add_f32_e32 v64, v64, v4
	v_sub_f32_e32 v68, v188, v146
	v_add_f32_e32 v64, v68, v64
	v_sub_f32_e32 v68, v198, v147
	v_add_f32_e32 v64, v68, v64
	v_sub_f32_e32 v68, v208, v148
	v_add_f32_e32 v64, v68, v64
	v_sub_f32_e32 v68, v218, v149
	v_add_f32_e32 v64, v68, v64
	v_sub_f32_e32 v68, v228, v152
	v_add_f32_e32 v64, v68, v64
	v_sub_f32_e32 v68, v238, v154
	v_add_f32_e32 v64, v68, v64
	v_sub_f32_e32 v68, v248, v156
	v_add_f32_e32 v64, v68, v64
	v_add_f32_e32 v68, v134, v177
	v_add_f32_e32 v68, v68, v5
	v_add_f32_e32 v69, v135, v187
	v_add_f32_e32 v68, v69, v68
	v_add_f32_e32 v69, v137, v197
	v_add_f32_e32 v68, v69, v68
	v_add_f32_e32 v69, v139, v207
	v_add_f32_e32 v68, v69, v68
	v_add_f32_e32 v69, v141, v217
	v_add_f32_e32 v68, v69, v68
	v_add_f32_e32 v69, v142, v227
	v_add_f32_e32 v68, v69, v68
	v_add_f32_e32 v69, v143, v237
	v_add_f32_e32 v68, v69, v68
	v_add_f32_e32 v69, v144, v247
	v_add_f32_e32 v69, v69, v68
	v_sub_f32_e32 v68, v128, v129
	v_add_f32_e32 v68, v68, v4
	v_sub_f32_e32 v71, v186, v130
	v_add_f32_e32 v68, v71, v68
	v_sub_f32_e32 v71, v196, v131
	v_add_f32_e32 v68, v71, v68
	v_sub_f32_e32 v71, v206, v132
	v_add_f32_e32 v68, v71, v68
	v_sub_f32_e32 v71, v216, v133
	v_add_f32_e32 v68, v71, v68
	v_sub_f32_e32 v71, v226, v136
	v_add_f32_e32 v68, v71, v68
	v_sub_f32_e32 v71, v236, v138
	v_add_f32_e32 v68, v71, v68
	v_sub_f32_e32 v71, v246, v140
	v_add_f32_e32 v68, v71, v68
	v_add_f32_e32 v71, v118, v127
	v_add_f32_e32 v71, v71, v5
	v_add_f32_e32 v72, v119, v185
	v_add_f32_e32 v71, v72, v71
	v_add_f32_e32 v72, v121, v195
	v_add_f32_e32 v71, v72, v71
	v_add_f32_e32 v72, v122, v205
	v_add_f32_e32 v71, v72, v71
	v_add_f32_e32 v72, v123, v215
	v_add_f32_e32 v71, v72, v71
	v_add_f32_e32 v72, v124, v225
	v_add_f32_e32 v71, v72, v71
	v_add_f32_e32 v72, v125, v235
	v_add_f32_e32 v71, v72, v71
	v_add_f32_e32 v72, v126, v245
	v_add_f32_e32 v72, v72, v71
	v_sub_f32_e32 v71, v108, v109
	v_add_f32_e32 v71, v71, v4
	v_sub_f32_e32 v75, v184, v110
	v_add_f32_e32 v71, v75, v71
	v_sub_f32_e32 v75, v194, v111
	v_add_f32_e32 v71, v75, v71
	v_sub_f32_e32 v75, v204, v112
	v_add_f32_e32 v71, v75, v71
	v_sub_f32_e32 v75, v214, v113
	v_add_f32_e32 v71, v75, v71
	v_sub_f32_e32 v75, v224, v114
	v_add_f32_e32 v71, v75, v71
	v_sub_f32_e32 v75, v234, v115
	v_add_f32_e32 v71, v75, v71
	v_sub_f32_e32 v75, v244, v116
	v_add_f32_e32 v71, v75, v71
	v_add_f32_e32 v75, v94, v76
	v_add_f32_e32 v75, v75, v5
	v_add_f32_e32 v76, v95, v183
	v_add_f32_e32 v75, v76, v75
	v_add_f32_e32 v76, v97, v193
	v_add_f32_e32 v75, v76, v75
	v_add_f32_e32 v76, v99, v203
	v_add_f32_e32 v75, v76, v75
	v_add_f32_e32 v76, v101, v213
	v_add_f32_e32 v75, v76, v75
	v_add_f32_e32 v76, v102, v223
	v_add_f32_e32 v75, v76, v75
	v_add_f32_e32 v76, v103, v233
	v_add_f32_e32 v75, v76, v75
	v_add_f32_e32 v76, v104, v243
	v_add_f32_e32 v76, v76, v75
	v_sub_f32_e32 v75, v107, v80
	v_add_f32_e32 v39, v39, v87
	v_sub_f32_e32 v38, v77, v38
	v_add_f32_e32 v75, v75, v4
	v_add_f32_e32 v39, v39, v5
	;; [unrolled: 1-line block ×20, first 2 shown]
	v_sub_f32_e32 v54, v180, v54
	v_add_f32_e32 v5, v27, v5
	v_add_f32_e32 v4, v26, v4
	v_sub_f32_e32 v78, v182, v81
	v_add_f32_e32 v39, v55, v39
	v_add_f32_e32 v55, v57, v191
	v_add_f32_e32 v38, v54, v38
	v_sub_f32_e32 v54, v190, v56
	v_add_f32_e32 v5, v9, v5
	v_add_f32_e32 v4, v8, v4
	v_add_f32_e32 v75, v78, v75
	v_sub_f32_e32 v78, v192, v83
	v_add_f32_e32 v39, v55, v39
	v_add_f32_e32 v55, v59, v201
	v_add_f32_e32 v38, v54, v38
	v_sub_f32_e32 v54, v200, v58
	v_add_f32_e32 v5, v11, v5
	v_add_f32_e32 v4, v10, v4
	v_add_f32_e32 v75, v78, v75
	v_sub_f32_e32 v78, v202, v88
	v_add_f32_e32 v39, v55, v39
	v_add_f32_e32 v55, v63, v211
	v_add_f32_e32 v38, v54, v38
	v_sub_f32_e32 v54, v210, v62
	v_add_f32_e32 v5, v29, v5
	v_add_f32_e32 v4, v28, v4
	v_add_f32_e32 v75, v78, v75
	v_sub_f32_e32 v78, v212, v93
	v_add_f32_e32 v39, v55, v39
	v_add_f32_e32 v55, v67, v221
	v_add_f32_e32 v38, v54, v38
	v_sub_f32_e32 v54, v220, v66
	v_add_f32_e32 v5, v31, v5
	v_add_f32_e32 v4, v30, v4
	v_add_f32_e32 v75, v78, v75
	v_sub_f32_e32 v78, v222, v96
	v_add_f32_e32 v39, v55, v39
	v_add_f32_e32 v55, v73, v231
	v_add_f32_e32 v38, v54, v38
	v_sub_f32_e32 v54, v230, v70
	v_add_f32_e32 v5, v33, v5
	v_add_f32_e32 v4, v32, v4
	v_add_f32_e32 v75, v78, v75
	v_sub_f32_e32 v78, v232, v98
	v_add_f32_e32 v39, v55, v39
	v_add_f32_e32 v55, v79, v241
	v_add_f32_e32 v38, v54, v38
	v_sub_f32_e32 v54, v240, v74
	v_add_f32_e32 v5, v35, v5
	v_add_f32_e32 v4, v34, v4
	v_add_f32_e32 v75, v78, v75
	v_sub_f32_e32 v78, v242, v100
	v_add_f32_e32 v39, v55, v39
	v_add_f32_e32 v38, v54, v38
	v_add_f32_e32 v5, v37, v5
	;; [unrolled: 1-line block ×3, first 2 shown]
	v_lshlrev_b32_e32 v6, 3, v91
	v_add_f32_e32 v75, v78, v75
	ds_write2_b64 v6, v[4:5], v[38:39] offset1:1
	ds_write2_b64 v6, v[75:76], v[71:72] offset0:2 offset1:3
	ds_write2_b64 v6, v[68:69], v[64:65] offset0:4 offset1:5
	;; [unrolled: 1-line block ×7, first 2 shown]
	ds_write_b64 v6, v[85:86] offset:128
.LBB0_7:
	s_or_b64 exec, exec, s[2:3]
	v_add_u32_e32 v4, 0x800, v89
	s_waitcnt lgkmcnt(0)
	s_barrier
	ds_read2_b64 v[32:35], v4 offset0:50 offset1:203
	v_add_u32_e32 v4, 0x1000, v89
	ds_read2_b64 v[28:31], v89 offset1:153
	ds_read2_b64 v[36:39], v4 offset0:100 offset1:253
	ds_read_b64 v[54:55], v89 offset:7344
	v_cmp_gt_u16_e64 s[2:3], 34, v90
	s_and_saveexec_b64 s[4:5], s[2:3]
	s_cbranch_execz .LBB0_9
; %bb.8:
	v_add_u32_e32 v4, 0xc00, v89
	v_add_u32_e32 v12, 0x200, v89
	ds_read2_b64 v[4:7], v4 offset0:41 offset1:194
	v_add_u32_e32 v8, 0x1400, v89
	ds_read2_b64 v[8:11], v8 offset0:91 offset1:244
	ds_read2_b64 v[12:15], v12 offset0:55 offset1:208
	ds_read_b64 v[40:41], v89 offset:8296
	s_waitcnt lgkmcnt(2)
	v_mov_b32_e32 v44, v10
	v_mov_b32_e32 v48, v6
	;; [unrolled: 1-line block ×8, first 2 shown]
	s_waitcnt lgkmcnt(1)
	v_mov_b32_e32 v50, v14
	v_mov_b32_e32 v51, v15
	v_mov_b32_e32 v42, v12
	v_mov_b32_e32 v43, v13
.LBB0_9:
	s_or_b64 exec, exec, s[4:5]
	s_movk_i32 s4, 0xf1
	v_mul_lo_u16_sdwa v4, v90, s4 dst_sel:DWORD dst_unused:UNUSED_PAD src0_sel:BYTE_0 src1_sel:DWORD
	v_lshrrev_b16_e32 v60, 12, v4
	v_add_u16_e32 v5, 0x77, v90
	v_mul_lo_u16_e32 v4, 17, v60
	v_mul_lo_u16_sdwa v6, v5, s4 dst_sel:DWORD dst_unused:UNUSED_PAD src0_sel:BYTE_0 src1_sel:DWORD
	v_sub_u16_e32 v4, v90, v4
	v_lshrrev_b16_e32 v92, 12, v6
	v_and_b32_e32 v61, 0xff, v4
	v_mul_lo_u16_e32 v6, 17, v92
	v_mul_u32_u24_e32 v4, 6, v61
	v_sub_u16_e32 v5, v5, v6
	v_lshlrev_b32_e32 v4, 3, v4
	v_and_b32_e32 v93, 0xff, v5
	global_load_dwordx4 v[20:23], v4, s[12:13]
	global_load_dwordx4 v[16:19], v4, s[12:13] offset:16
	global_load_dwordx4 v[24:27], v4, s[12:13] offset:32
	v_mul_u32_u24_e32 v4, 6, v93
	v_lshlrev_b32_e32 v56, 3, v4
	global_load_dwordx4 v[4:7], v56, s[12:13]
	global_load_dwordx4 v[12:15], v56, s[12:13] offset:16
	global_load_dwordx4 v[8:11], v56, s[12:13] offset:32
	s_mov_b32 s14, 0x3f5ff5aa
	s_mov_b32 s15, 0x3f3bfb3b
	;; [unrolled: 1-line block ×4, first 2 shown]
	s_load_dwordx4 s[4:7], s[6:7], 0x0
	s_waitcnt vmcnt(0) lgkmcnt(0)
	s_barrier
	v_mul_f32_e32 v56, v31, v21
	v_mul_f32_e32 v57, v30, v21
	v_mul_f32_e32 v58, v33, v23
	v_mul_f32_e32 v62, v35, v17
	v_mul_f32_e32 v63, v34, v17
	v_mul_f32_e32 v66, v39, v25
	v_mul_f32_e32 v68, v55, v27
	v_mul_f32_e32 v59, v32, v23
	v_mul_f32_e32 v64, v37, v19
	v_mul_f32_e32 v67, v38, v25
	v_mul_f32_e32 v69, v54, v27
	v_fma_f32 v30, v30, v20, -v56
	v_fmac_f32_e32 v57, v31, v20
	v_fma_f32 v31, v32, v22, -v58
	v_fma_f32 v32, v34, v16, -v62
	v_fmac_f32_e32 v63, v35, v16
	v_fma_f32 v34, v38, v24, -v66
	v_fma_f32 v35, v54, v26, -v68
	v_mul_f32_e32 v65, v36, v19
	v_mul_f32_e32 v75, v48, v13
	;; [unrolled: 1-line block ×5, first 2 shown]
	v_fmac_f32_e32 v59, v33, v22
	v_fma_f32 v33, v36, v18, -v64
	v_fmac_f32_e32 v67, v39, v24
	v_fmac_f32_e32 v69, v55, v26
	v_add_f32_e32 v36, v30, v35
	v_add_f32_e32 v38, v31, v34
	v_mul_f32_e32 v71, v50, v5
	v_mul_f32_e32 v72, v53, v7
	;; [unrolled: 1-line block ×6, first 2 shown]
	v_fmac_f32_e32 v65, v37, v18
	v_fmac_f32_e32 v75, v49, v12
	v_fmac_f32_e32 v77, v47, v14
	v_fma_f32 v47, v44, v8, -v78
	v_fma_f32 v49, v40, v10, -v80
	v_add_f32_e32 v37, v57, v69
	v_add_f32_e32 v39, v59, v67
	v_add_f32_e32 v40, v32, v33
	v_add_f32_e32 v44, v38, v36
	v_mul_f32_e32 v70, v51, v5
	v_mul_f32_e32 v73, v52, v7
	v_fmac_f32_e32 v71, v51, v4
	v_fma_f32 v51, v52, v6, -v72
	v_fmac_f32_e32 v79, v45, v8
	v_fmac_f32_e32 v81, v41, v10
	v_sub_f32_e32 v30, v30, v35
	v_sub_f32_e32 v35, v57, v69
	;; [unrolled: 1-line block ×4, first 2 shown]
	v_add_f32_e32 v41, v63, v65
	v_sub_f32_e32 v32, v33, v32
	v_sub_f32_e32 v33, v65, v63
	v_add_f32_e32 v45, v39, v37
	v_sub_f32_e32 v52, v38, v36
	v_sub_f32_e32 v36, v36, v40
	;; [unrolled: 1-line block ×3, first 2 shown]
	v_add_f32_e32 v40, v40, v44
	v_fmac_f32_e32 v73, v53, v6
	v_sub_f32_e32 v53, v39, v37
	v_sub_f32_e32 v37, v37, v41
	;; [unrolled: 1-line block ×3, first 2 shown]
	v_add_f32_e32 v55, v33, v34
	v_sub_f32_e32 v57, v33, v34
	v_sub_f32_e32 v58, v34, v35
	v_add_f32_e32 v41, v41, v45
	v_add_f32_e32 v34, v28, v40
	;; [unrolled: 1-line block ×3, first 2 shown]
	v_sub_f32_e32 v56, v32, v31
	v_sub_f32_e32 v33, v35, v33
	;; [unrolled: 1-line block ×3, first 2 shown]
	v_add_f32_e32 v44, v55, v35
	v_add_f32_e32 v35, v29, v41
	v_mul_f32_e32 v55, 0xbf08b237, v57
	v_mov_b32_e32 v57, v34
	v_sub_f32_e32 v32, v30, v32
	v_add_f32_e32 v30, v54, v30
	v_mul_f32_e32 v28, 0x3f4a47b2, v36
	v_mul_f32_e32 v29, 0x3f4a47b2, v37
	;; [unrolled: 1-line block ×5, first 2 shown]
	v_fmac_f32_e32 v57, 0xbf955555, v40
	v_mov_b32_e32 v40, v35
	v_mul_f32_e32 v56, 0x3f5ff5aa, v58
	v_fmac_f32_e32 v40, 0xbf955555, v41
	v_fma_f32 v36, v52, s15, -v36
	v_fma_f32 v41, v52, s16, -v28
	v_fmac_f32_e32 v28, 0x3d64c772, v38
	v_fma_f32 v38, v53, s16, -v29
	v_fma_f32 v31, v31, s14, -v54
	v_fmac_f32_e32 v54, 0x3eae86e6, v32
	v_fma_f32 v52, v58, s14, -v55
	v_fmac_f32_e32 v55, 0x3eae86e6, v33
	v_fma_f32 v32, v32, s17, -v45
	v_fma_f32 v50, v50, v4, -v70
	v_mul_f32_e32 v37, 0x3d64c772, v39
	v_fmac_f32_e32 v29, 0x3d64c772, v39
	v_fma_f32 v33, v33, s17, -v56
	v_add_f32_e32 v28, v28, v57
	v_add_f32_e32 v45, v36, v57
	;; [unrolled: 1-line block ×4, first 2 shown]
	v_fmac_f32_e32 v55, 0x3ee1c552, v44
	v_fmac_f32_e32 v32, 0x3ee1c552, v30
	v_fma_f32 v48, v48, v12, -v74
	v_fma_f32 v46, v46, v14, -v76
	;; [unrolled: 1-line block ×3, first 2 shown]
	v_add_f32_e32 v29, v29, v40
	v_fmac_f32_e32 v54, 0x3ee1c552, v30
	v_fmac_f32_e32 v52, 0x3ee1c552, v44
	;; [unrolled: 1-line block ×3, first 2 shown]
	v_add_f32_e32 v36, v55, v28
	v_sub_f32_e32 v39, v57, v32
	v_add_f32_e32 v57, v32, v57
	v_sub_f32_e32 v58, v28, v55
	v_add_f32_e32 v28, v50, v49
	v_add_f32_e32 v32, v51, v47
	;; [unrolled: 1-line block ×3, first 2 shown]
	v_fmac_f32_e32 v31, 0x3ee1c552, v30
	v_sub_f32_e32 v37, v29, v54
	v_add_f32_e32 v38, v33, v56
	v_sub_f32_e32 v40, v45, v52
	v_add_f32_e32 v44, v52, v45
	;; [unrolled: 2-line block ×3, first 2 shown]
	v_add_f32_e32 v29, v71, v81
	v_sub_f32_e32 v30, v50, v49
	v_add_f32_e32 v33, v73, v79
	v_sub_f32_e32 v47, v51, v47
	;; [unrolled: 2-line block ×3, first 2 shown]
	v_add_f32_e32 v52, v32, v28
	v_add_f32_e32 v41, v31, v53
	v_sub_f32_e32 v45, v53, v31
	v_sub_f32_e32 v49, v73, v79
	v_add_f32_e32 v51, v75, v77
	v_sub_f32_e32 v48, v77, v75
	v_add_f32_e32 v53, v33, v29
	v_sub_f32_e32 v54, v32, v28
	v_sub_f32_e32 v62, v28, v50
	;; [unrolled: 1-line block ×3, first 2 shown]
	v_add_f32_e32 v28, v46, v47
	v_add_f32_e32 v50, v50, v52
	v_sub_f32_e32 v31, v71, v81
	v_sub_f32_e32 v55, v33, v29
	;; [unrolled: 1-line block ×4, first 2 shown]
	v_add_f32_e32 v29, v48, v49
	v_add_f32_e32 v51, v51, v53
	;; [unrolled: 1-line block ×4, first 2 shown]
	v_sub_f32_e32 v65, v48, v49
	v_add_f32_e32 v53, v29, v31
	v_add_f32_e32 v29, v43, v51
	v_mov_b32_e32 v66, v28
	v_sub_f32_e32 v64, v46, v47
	v_sub_f32_e32 v48, v31, v48
	;; [unrolled: 1-line block ×4, first 2 shown]
	v_mul_f32_e32 v42, 0x3f4a47b2, v62
	v_mul_f32_e32 v62, 0x3d64c772, v32
	;; [unrolled: 1-line block ×3, first 2 shown]
	v_fmac_f32_e32 v66, 0xbf955555, v50
	v_mov_b32_e32 v50, v29
	v_sub_f32_e32 v46, v30, v46
	v_mul_f32_e32 v43, 0x3f4a47b2, v63
	v_mul_f32_e32 v63, 0x3d64c772, v33
	;; [unrolled: 1-line block ×5, first 2 shown]
	v_fmac_f32_e32 v50, 0xbf955555, v51
	v_fma_f32 v51, v54, s15, -v62
	v_fma_f32 v54, v54, s16, -v42
	v_fmac_f32_e32 v42, 0x3d64c772, v32
	v_fma_f32 v67, v49, s14, -v31
	v_fma_f32 v62, v55, s15, -v63
	v_fma_f32 v55, v55, s16, -v43
	v_fmac_f32_e32 v43, 0x3d64c772, v33
	v_fma_f32 v63, v47, s14, -v30
	v_fmac_f32_e32 v30, 0x3eae86e6, v46
	v_fmac_f32_e32 v31, 0x3eae86e6, v48
	v_fma_f32 v64, v46, s17, -v64
	v_fma_f32 v65, v48, s17, -v65
	v_add_f32_e32 v32, v42, v66
	v_add_f32_e32 v42, v51, v66
	v_fmac_f32_e32 v67, 0x3ee1c552, v53
	v_add_f32_e32 v33, v43, v50
	v_add_f32_e32 v43, v62, v50
	;; [unrolled: 1-line block ×4, first 2 shown]
	v_fmac_f32_e32 v30, 0x3ee1c552, v52
	v_fmac_f32_e32 v31, 0x3ee1c552, v53
	;; [unrolled: 1-line block ×5, first 2 shown]
	v_sub_f32_e32 v48, v42, v67
	v_add_f32_e32 v50, v67, v42
	v_mul_u32_u24_e32 v42, 0x77, v60
	v_add_f32_e32 v46, v65, v54
	v_sub_f32_e32 v47, v55, v64
	v_add_f32_e32 v49, v63, v43
	v_sub_f32_e32 v51, v43, v63
	v_sub_f32_e32 v52, v54, v65
	v_add_f32_e32 v53, v64, v55
	v_sub_f32_e32 v54, v32, v31
	v_add_f32_e32 v55, v30, v33
	v_add_lshl_u32 v94, v42, v61, 3
	ds_write2_b64 v94, v[34:35], v[36:37] offset1:17
	ds_write2_b64 v94, v[38:39], v[40:41] offset0:34 offset1:51
	ds_write2_b64 v94, v[44:45], v[56:57] offset0:68 offset1:85
	ds_write_b64 v94, v[58:59] offset:816
	s_and_saveexec_b64 s[14:15], s[2:3]
	s_cbranch_execz .LBB0_11
; %bb.10:
	v_sub_f32_e32 v33, v33, v30
	v_mul_u32_u24_e32 v30, 0x77, v92
	v_add_f32_e32 v32, v31, v32
	v_add_lshl_u32 v30, v30, v93, 3
	ds_write2_b64 v30, v[28:29], v[32:33] offset1:17
	ds_write2_b64 v30, v[46:47], v[48:49] offset0:34 offset1:51
	ds_write2_b64 v30, v[50:51], v[52:53] offset0:68 offset1:85
	ds_write_b64 v30, v[54:55] offset:816
.LBB0_11:
	s_or_b64 exec, exec, s[14:15]
	v_lshlrev_b32_e32 v44, 6, v90
	s_waitcnt lgkmcnt(0)
	s_barrier
	global_load_dwordx4 v[40:43], v44, s[12:13] offset:816
	global_load_dwordx4 v[36:39], v44, s[12:13] offset:832
	;; [unrolled: 1-line block ×4, first 2 shown]
	v_add_u32_e32 v74, 0x800, v89
	ds_read_b64 v[75:76], v89
	ds_read2_b64 v[56:59], v89 offset0:119 offset1:238
	v_add_u32_e32 v73, 0x1000, v89
	v_add_u32_e32 v72, 0x1800, v89
	ds_read2_b64 v[60:63], v74 offset0:101 offset1:220
	ds_read2_b64 v[64:67], v73 offset0:83 offset1:202
	;; [unrolled: 1-line block ×3, first 2 shown]
	s_waitcnt lgkmcnt(4)
	v_mov_b32_e32 v44, v75
	v_mov_b32_e32 v45, v76
	s_mov_b32 s12, 0xbf248dbb
	s_waitcnt vmcnt(3) lgkmcnt(3)
	v_mul_f32_e32 v77, v57, v41
	v_mul_f32_e32 v78, v56, v41
	s_waitcnt vmcnt(2) lgkmcnt(2)
	v_mul_f32_e32 v82, v60, v37
	s_waitcnt vmcnt(0) lgkmcnt(0)
	v_mul_f32_e32 v100, v71, v31
	v_mul_f32_e32 v101, v70, v31
	;; [unrolled: 1-line block ×7, first 2 shown]
	v_fma_f32 v56, v56, v40, -v77
	v_fmac_f32_e32 v78, v57, v40
	v_fmac_f32_e32 v82, v61, v36
	v_fma_f32 v61, v70, v30, -v100
	v_fmac_f32_e32 v101, v71, v30
	v_mul_f32_e32 v96, v67, v35
	v_mul_f32_e32 v97, v66, v35
	v_fma_f32 v57, v58, v42, -v79
	v_fmac_f32_e32 v80, v59, v42
	v_fma_f32 v58, v60, v36, -v81
	v_fma_f32 v60, v68, v28, -v98
	v_fmac_f32_e32 v99, v69, v28
	v_add_f32_e32 v68, v56, v61
	v_add_f32_e32 v69, v78, v101
	v_sub_f32_e32 v78, v78, v101
	v_mul_f32_e32 v83, v63, v39
	v_mul_f32_e32 v87, v62, v39
	;; [unrolled: 1-line block ×4, first 2 shown]
	v_fma_f32 v59, v66, v34, -v96
	v_fmac_f32_e32 v97, v67, v34
	v_add_f32_e32 v70, v57, v60
	v_add_f32_e32 v71, v80, v99
	v_sub_f32_e32 v56, v56, v61
	v_sub_f32_e32 v80, v80, v99
	v_mul_f32_e32 v61, 0x3f248dbb, v78
	v_fmac_f32_e32 v44, 0x3f441b7d, v68
	v_fma_f32 v77, v62, v38, -v83
	v_fmac_f32_e32 v87, v63, v38
	v_fma_f32 v79, v64, v32, -v88
	v_fmac_f32_e32 v95, v65, v32
	v_add_f32_e32 v81, v58, v59
	v_add_f32_e32 v83, v82, v97
	v_sub_f32_e32 v82, v82, v97
	v_fmac_f32_e32 v61, 0x3f7c1c5c, v80
	v_fmac_f32_e32 v44, 0x3e31d0d4, v70
	v_sub_f32_e32 v97, v87, v95
	v_add_f32_e32 v98, v77, v79
	v_fmac_f32_e32 v61, 0x3f5db3d7, v82
	v_fmac_f32_e32 v44, -0.5, v81
	v_fmac_f32_e32 v61, 0x3eaf1d44, v97
	v_fmac_f32_e32 v44, 0xbf708fb2, v98
	v_sub_f32_e32 v88, v58, v59
	v_add_f32_e32 v58, v61, v44
	v_sub_f32_e32 v57, v57, v60
	v_sub_f32_e32 v96, v77, v79
	v_add_f32_e32 v99, v87, v95
	v_mul_f32_e32 v60, 0x3f248dbb, v56
	v_fmac_f32_e32 v45, 0x3f441b7d, v69
	v_fma_f32 v44, -2.0, v61, v58
	v_mov_b32_e32 v61, v76
	v_mul_f32_e32 v62, 0xbf248dbb, v96
	v_fmac_f32_e32 v60, 0x3f7c1c5c, v57
	v_fmac_f32_e32 v45, 0x3e31d0d4, v71
	;; [unrolled: 1-line block ×5, first 2 shown]
	v_fmac_f32_e32 v45, -0.5, v83
	v_fmac_f32_e32 v61, 0x3e31d0d4, v69
	v_fmac_f32_e32 v60, 0x3eaf1d44, v96
	;; [unrolled: 1-line block ×4, first 2 shown]
	v_fmac_f32_e32 v61, -0.5, v83
	v_sub_f32_e32 v59, v45, v60
	v_fmac_f32_e32 v62, 0x3eaf1d44, v57
	v_fmac_f32_e32 v61, 0xbf708fb2, v71
	v_fma_f32 v45, 2.0, v60, v59
	v_mov_b32_e32 v60, v75
	v_sub_f32_e32 v61, v61, v62
	v_mul_f32_e32 v63, 0xbf248dbb, v97
	v_fmac_f32_e32 v60, 0x3f441b7d, v98
	v_fma_f32 v67, 2.0, v62, v61
	v_add_f32_e32 v62, v96, v56
	v_mul_f32_e32 v96, 0x3f7c1c5c, v96
	v_fmac_f32_e32 v63, 0x3f7c1c5c, v78
	v_fmac_f32_e32 v60, 0x3e31d0d4, v68
	v_fma_f32 v96, v57, s12, -v96
	v_fmac_f32_e32 v63, 0xbf5db3d7, v82
	v_fmac_f32_e32 v60, -0.5, v81
	v_add_f32_e32 v102, v70, v68
	v_add_f32_e32 v103, v71, v69
	v_fmac_f32_e32 v96, 0x3f5db3d7, v88
	v_fmac_f32_e32 v63, 0x3eaf1d44, v80
	;; [unrolled: 1-line block ×3, first 2 shown]
	v_sub_f32_e32 v64, v62, v57
	v_fmac_f32_e32 v96, 0x3eaf1d44, v56
	v_add_f32_e32 v56, v81, v102
	v_add_f32_e32 v57, v83, v103
	;; [unrolled: 1-line block ×5, first 2 shown]
	v_fma_f32 v66, -2.0, v63, v60
	v_add_f32_e32 v63, v97, v78
	v_add_f32_e32 v56, v79, v56
	;; [unrolled: 1-line block ×3, first 2 shown]
	v_sub_f32_e32 v65, v63, v80
	v_add_f32_e32 v62, v81, v75
	v_add_f32_e32 v63, v83, v76
	v_mul_f32_e32 v97, 0x3f7c1c5c, v97
	v_add_f32_e32 v56, v56, v75
	v_add_f32_e32 v57, v57, v76
	v_fmac_f32_e32 v75, 0x3f441b7d, v70
	v_fmac_f32_e32 v76, 0x3f441b7d, v71
	v_fma_f32 v80, v80, s12, -v97
	v_fmac_f32_e32 v75, 0x3e31d0d4, v98
	v_fmac_f32_e32 v76, 0x3e31d0d4, v99
	v_add_f32_e32 v104, v98, v102
	v_add_f32_e32 v105, v99, v103
	v_fmac_f32_e32 v80, 0x3f5db3d7, v82
	v_fmac_f32_e32 v75, -0.5, v81
	v_fmac_f32_e32 v76, -0.5, v83
	;; [unrolled: 1-line block ×4, first 2 shown]
	v_fmac_f32_e32 v80, 0x3eaf1d44, v78
	v_fmac_f32_e32 v75, 0xbf708fb2, v68
	;; [unrolled: 1-line block ×5, first 2 shown]
	v_add_f32_e32 v68, v80, v75
	v_sub_f32_e32 v69, v76, v96
	v_add_u32_e32 v75, 0x400, v89
	v_mul_f32_e32 v100, 0x3f5db3d7, v64
	v_mul_f32_e32 v101, 0x3f5db3d7, v65
	v_fma_f32 v70, -2.0, v80, v68
	v_fma_f32 v71, 2.0, v96, v69
	ds_write_b64 v89, v[56:57]
	ds_write_b64 v89, v[58:59] offset:952
	ds_write2_b64 v75, v[60:61], v[62:63] offset0:110 offset1:229
	v_add_u32_e32 v75, 0xc00, v89
	v_fma_f32 v64, -2.0, v101, v62
	v_fma_f32 v65, 2.0, v100, v63
	ds_write2_b64 v75, v[68:69], v[70:71] offset0:92 offset1:211
	v_add_u32_e32 v75, 0x1400, v89
	ds_write2_b64 v75, v[64:65], v[66:67] offset0:74 offset1:193
	ds_write_b64 v89, v[44:45] offset:7616
	s_waitcnt lgkmcnt(0)
	s_barrier
	s_and_saveexec_b64 s[12:13], s[0:1]
	s_cbranch_execz .LBB0_13
; %bb.12:
	v_mov_b32_e32 v75, s9
	v_add_co_u32_e32 v81, vcc, s8, v89
	v_addc_co_u32_e32 v82, vcc, 0, v75, vcc
	v_add_co_u32_e32 v75, vcc, 0x2178, v81
	v_addc_co_u32_e32 v76, vcc, 0, v82, vcc
	;; [unrolled: 2-line block ×3, first 2 shown]
	global_load_dwordx2 v[79:80], v[77:78], off offset:376
	global_load_dwordx2 v[87:88], v[75:76], off offset:504
	global_load_dwordx2 v[111:112], v[75:76], off offset:1008
	global_load_dwordx2 v[113:114], v[75:76], off offset:1512
	global_load_dwordx2 v[115:116], v[75:76], off offset:2016
	global_load_dwordx2 v[117:118], v[75:76], off offset:2520
	global_load_dwordx2 v[119:120], v[75:76], off offset:3024
	global_load_dwordx2 v[121:122], v[75:76], off offset:3528
	global_load_dwordx2 v[123:124], v[75:76], off offset:4032
	s_movk_i32 s14, 0x3000
	v_add_co_u32_e32 v75, vcc, s14, v81
	v_addc_co_u32_e32 v76, vcc, 0, v82, vcc
	global_load_dwordx2 v[125:126], v[75:76], off offset:816
	global_load_dwordx2 v[127:128], v[75:76], off offset:1320
	;; [unrolled: 1-line block ×7, first 2 shown]
	v_add_co_u32_e32 v75, vcc, 0x4000, v81
	v_addc_co_u32_e32 v76, vcc, 0, v82, vcc
	global_load_dwordx2 v[139:140], v[75:76], off offset:248
	ds_read_b64 v[77:78], v89
	s_waitcnt vmcnt(16) lgkmcnt(0)
	v_mul_f32_e32 v75, v78, v80
	v_mul_f32_e32 v76, v77, v80
	v_fma_f32 v75, v77, v79, -v75
	v_fmac_f32_e32 v76, v78, v79
	ds_write_b64 v89, v[75:76]
	ds_read2_b64 v[75:78], v89 offset0:63 offset1:126
	ds_read2_b64 v[79:82], v89 offset0:189 offset1:252
	;; [unrolled: 1-line block ×6, first 2 shown]
	s_waitcnt vmcnt(15) lgkmcnt(5)
	v_mul_f32_e32 v141, v76, v88
	v_mul_f32_e32 v142, v75, v88
	s_waitcnt vmcnt(14)
	v_mul_f32_e32 v143, v78, v112
	v_mul_f32_e32 v88, v77, v112
	s_waitcnt vmcnt(13) lgkmcnt(4)
	v_mul_f32_e32 v144, v80, v114
	v_mul_f32_e32 v112, v79, v114
	s_waitcnt vmcnt(12)
	v_mul_f32_e32 v145, v82, v116
	v_mul_f32_e32 v114, v81, v116
	;; [unrolled: 6-line block ×4, first 2 shown]
	s_waitcnt vmcnt(7) lgkmcnt(1)
	v_mul_f32_e32 v124, v104, v126
	v_mul_f32_e32 v122, v103, v126
	s_waitcnt vmcnt(6)
	v_mul_f32_e32 v126, v106, v128
	v_fma_f32 v141, v75, v87, -v141
	v_fmac_f32_e32 v142, v76, v87
	v_fma_f32 v87, v77, v111, -v143
	v_fmac_f32_e32 v88, v78, v111
	v_mul_f32_e32 v75, v105, v128
	v_fma_f32 v111, v79, v113, -v144
	v_fmac_f32_e32 v112, v80, v113
	v_fma_f32 v113, v81, v115, -v145
	v_fmac_f32_e32 v114, v82, v115
	v_fma_f32 v82, v95, v117, -v146
	v_fmac_f32_e32 v83, v96, v117
	v_fma_f32 v115, v97, v119, -v147
	v_fmac_f32_e32 v116, v98, v119
	v_fma_f32 v117, v99, v121, -v148
	v_fmac_f32_e32 v118, v100, v121
	v_fma_f32 v119, v101, v123, -v149
	v_fmac_f32_e32 v120, v102, v123
	v_fma_f32 v121, v103, v125, -v124
	v_fmac_f32_e32 v122, v104, v125
	ds_write2_b64 v89, v[141:142], v[87:88] offset0:63 offset1:126
	ds_write2_b64 v89, v[111:112], v[113:114] offset0:189 offset1:252
	;; [unrolled: 1-line block ×4, first 2 shown]
	v_fma_f32 v74, v105, v127, -v126
	v_fmac_f32_e32 v75, v106, v127
	ds_write2_b64 v73, v[121:122], v[74:75] offset0:55 offset1:118
	s_waitcnt vmcnt(5) lgkmcnt(5)
	v_mul_f32_e32 v74, v108, v130
	v_fma_f32 v78, v107, v129, -v74
	ds_read2_b64 v[74:77], v72 offset0:51 offset1:114
	v_mul_f32_e32 v79, v107, v130
	s_waitcnt vmcnt(4)
	v_mul_f32_e32 v80, v110, v132
	v_mul_f32_e32 v81, v109, v132
	v_fmac_f32_e32 v79, v108, v129
	v_fma_f32 v80, v109, v131, -v80
	v_fmac_f32_e32 v81, v110, v131
	ds_write2_b64 v73, v[78:79], v[80:81] offset0:181 offset1:244
	s_waitcnt vmcnt(3) lgkmcnt(1)
	v_mul_f32_e32 v73, v75, v134
	ds_read2_b64 v[78:81], v72 offset0:177 offset1:240
	v_fma_f32 v73, v74, v133, -v73
	v_mul_f32_e32 v74, v74, v134
	v_fmac_f32_e32 v74, v75, v133
	s_waitcnt vmcnt(2)
	v_mul_f32_e32 v75, v77, v136
	v_fma_f32 v75, v76, v135, -v75
	v_mul_f32_e32 v76, v76, v136
	v_fmac_f32_e32 v76, v77, v135
	ds_write2_b64 v72, v[73:74], v[75:76] offset0:51 offset1:114
	s_waitcnt vmcnt(1) lgkmcnt(1)
	v_mul_f32_e32 v73, v79, v138
	v_mul_f32_e32 v74, v78, v138
	s_waitcnt vmcnt(0)
	v_mul_f32_e32 v75, v81, v140
	v_mul_f32_e32 v76, v80, v140
	v_fma_f32 v73, v78, v137, -v73
	v_fmac_f32_e32 v74, v79, v137
	v_fma_f32 v75, v80, v139, -v75
	v_fmac_f32_e32 v76, v81, v139
	ds_write2_b64 v72, v[73:74], v[75:76] offset0:177 offset1:240
.LBB0_13:
	s_or_b64 exec, exec, s[12:13]
	s_waitcnt lgkmcnt(0)
	s_barrier
	s_and_saveexec_b64 s[12:13], s[0:1]
	s_cbranch_execz .LBB0_15
; %bb.14:
	v_add_u32_e32 v0, 0x400, v89
	ds_read2_b64 v[56:59], v89 offset1:63
	ds_read2_b64 v[60:63], v89 offset0:126 offset1:189
	ds_read2_b64 v[68:71], v0 offset0:124 offset1:187
	v_add_u32_e32 v0, 0x800, v89
	ds_read2_b64 v[64:67], v0 offset0:122 offset1:185
	v_add_u32_e32 v0, 0xc00, v89
	;; [unrolled: 2-line block ×5, first 2 shown]
	ds_read2_b64 v[0:3], v0 offset0:114 offset1:177
	ds_read_b64 v[85:86], v89 offset:8064
.LBB0_15:
	s_or_b64 exec, exec, s[12:13]
	s_waitcnt lgkmcnt(0)
	v_sub_f32_e32 v102, v59, v86
	v_add_f32_e32 v95, v85, v58
	v_add_f32_e32 v104, v86, v59
	s_mov_b32 s14, 0x3dbcf732
	v_mul_f32_e32 v116, 0xbf7ee86f, v102
	v_sub_f32_e32 v106, v61, v3
	v_mul_f32_e32 v119, 0x3dbcf732, v104
	v_fma_f32 v72, v95, s14, -v116
	s_mov_b32 s18, 0xbf7ba420
	v_add_f32_e32 v97, v2, v60
	v_add_f32_e32 v108, v3, v61
	v_mul_f32_e32 v124, 0xbe3c28d5, v106
	v_sub_f32_e32 v96, v58, v85
	v_add_f32_e32 v72, v56, v72
	v_mov_b32_e32 v73, v119
	v_mul_f32_e32 v127, 0xbf7ba420, v108
	v_fma_f32 v99, v97, s18, -v124
	v_fmac_f32_e32 v73, 0xbf7ee86f, v96
	s_mov_b32 s15, 0xbe8c1d8e
	v_mul_f32_e32 v122, 0xbf763a35, v102
	v_sub_f32_e32 v98, v60, v2
	v_add_f32_e32 v72, v99, v72
	v_mov_b32_e32 v99, v127
	v_add_f32_e32 v73, v57, v73
	v_mul_f32_e32 v125, 0xbe8c1d8e, v104
	v_fma_f32 v74, v95, s15, -v122
	s_mov_b32 s17, 0xbf59a7d5
	v_fmac_f32_e32 v99, 0xbe3c28d5, v98
	v_mul_f32_e32 v129, 0x3f06c442, v106
	v_add_f32_e32 v74, v56, v74
	v_mov_b32_e32 v75, v125
	v_add_f32_e32 v73, v99, v73
	v_mul_f32_e32 v133, 0xbf59a7d5, v108
	v_fma_f32 v99, v97, s17, -v129
	v_fmac_f32_e32 v75, 0xbf763a35, v96
	s_mov_b32 s16, 0xbf1a4643
	v_mul_f32_e32 v128, 0xbf4c4adb, v102
	v_add_f32_e32 v74, v99, v74
	v_mov_b32_e32 v99, v133
	v_add_f32_e32 v75, v57, v75
	v_mul_f32_e32 v131, 0xbf1a4643, v104
	v_fma_f32 v76, v95, s16, -v128
	v_fmac_f32_e32 v99, 0x3f06c442, v98
	v_mul_f32_e32 v136, 0x3f763a35, v106
	v_add_f32_e32 v76, v56, v76
	v_mov_b32_e32 v77, v131
	v_add_f32_e32 v75, v99, v75
	v_mul_f32_e32 v139, 0xbe8c1d8e, v108
	v_fma_f32 v99, v97, s15, -v136
	v_fmac_f32_e32 v77, 0xbf4c4adb, v96
	v_add_f32_e32 v76, v99, v76
	v_mov_b32_e32 v99, v139
	v_add_f32_e32 v77, v57, v77
	v_mul_f32_e32 v78, 0xbf06c442, v102
	v_fmac_f32_e32 v99, 0x3f763a35, v98
	v_mov_b32_e32 v79, v78
	v_add_f32_e32 v77, v99, v77
	v_mul_f32_e32 v99, 0x3f65296c, v106
	v_fmac_f32_e32 v79, 0xbf59a7d5, v95
	v_mov_b32_e32 v100, v99
	v_add_f32_e32 v79, v56, v79
	v_mul_f32_e32 v80, 0xbf59a7d5, v104
	v_fma_f32 v78, v95, s17, -v78
	s_mov_b32 s19, 0x3ee437d1
	v_fmac_f32_e32 v100, 0x3ee437d1, v97
	v_mov_b32_e32 v81, v80
	v_add_f32_e32 v78, v56, v78
	v_fmac_f32_e32 v80, 0xbf06c442, v96
	v_mul_f32_e32 v82, 0xbe3c28d5, v102
	v_add_f32_e32 v79, v100, v79
	v_mul_f32_e32 v100, 0x3ee437d1, v108
	v_fma_f32 v99, v97, s19, -v99
	v_add_f32_e32 v80, v57, v80
	v_mov_b32_e32 v83, v82
	v_mov_b32_e32 v101, v100
	v_add_f32_e32 v78, v99, v78
	v_fmac_f32_e32 v100, 0x3f65296c, v98
	v_mul_f32_e32 v99, 0x3eb8f4ab, v106
	v_fmac_f32_e32 v83, 0xbf7ba420, v95
	v_add_f32_e32 v80, v100, v80
	v_mov_b32_e32 v100, v99
	v_fmac_f32_e32 v81, 0x3f06c442, v96
	v_add_f32_e32 v83, v56, v83
	v_mul_f32_e32 v87, 0xbf7ba420, v104
	v_fmac_f32_e32 v100, 0x3f6eb680, v97
	v_add_f32_e32 v81, v57, v81
	v_mov_b32_e32 v88, v87
	v_fma_f32 v82, v95, s18, -v82
	v_fmac_f32_e32 v101, 0xbf65296c, v98
	s_mov_b32 s20, 0x3f6eb680
	v_add_f32_e32 v83, v100, v83
	v_mul_f32_e32 v100, 0x3f6eb680, v108
	v_fmac_f32_e32 v88, 0x3e3c28d5, v96
	v_add_f32_e32 v82, v56, v82
	v_add_f32_e32 v81, v101, v81
	v_mov_b32_e32 v101, v100
	v_fma_f32 v99, v97, s20, -v99
	v_sub_f32_e32 v110, v63, v1
	v_add_f32_e32 v88, v57, v88
	v_fmac_f32_e32 v87, 0xbe3c28d5, v96
	v_fmac_f32_e32 v101, 0xbeb8f4ab, v98
	v_add_f32_e32 v82, v99, v82
	v_add_f32_e32 v99, v0, v62
	;; [unrolled: 1-line block ×3, first 2 shown]
	v_mul_f32_e32 v132, 0x3f763a35, v110
	v_add_f32_e32 v87, v57, v87
	v_add_f32_e32 v88, v101, v88
	v_fmac_f32_e32 v100, 0x3eb8f4ab, v98
	v_mul_f32_e32 v135, 0xbe8c1d8e, v112
	v_fma_f32 v101, v99, s15, -v132
	v_add_f32_e32 v87, v100, v87
	v_sub_f32_e32 v100, v62, v0
	v_add_f32_e32 v72, v101, v72
	v_mov_b32_e32 v101, v135
	v_fmac_f32_e32 v101, 0x3f763a35, v100
	s_mov_b32 s21, 0x3f3d2fb0
	v_mul_f32_e32 v138, 0x3f2c7751, v110
	v_add_f32_e32 v73, v101, v73
	v_mul_f32_e32 v142, 0x3f3d2fb0, v112
	v_fma_f32 v101, v99, s21, -v138
	v_add_f32_e32 v74, v101, v74
	v_mov_b32_e32 v101, v142
	v_fmac_f32_e32 v101, 0x3f2c7751, v100
	v_mul_f32_e32 v144, 0xbeb8f4ab, v110
	v_add_f32_e32 v75, v101, v75
	v_mul_f32_e32 v147, 0x3f6eb680, v112
	v_fma_f32 v101, v99, s20, -v144
	v_add_f32_e32 v76, v101, v76
	v_mov_b32_e32 v101, v147
	v_fmac_f32_e32 v101, 0xbeb8f4ab, v100
	v_add_f32_e32 v77, v101, v77
	v_mul_f32_e32 v101, 0xbf7ee86f, v110
	v_mov_b32_e32 v103, v101
	v_fmac_f32_e32 v103, 0x3dbcf732, v99
	v_add_f32_e32 v79, v103, v79
	v_mul_f32_e32 v103, 0x3dbcf732, v112
	v_fma_f32 v101, v99, s14, -v101
	v_mov_b32_e32 v105, v103
	v_add_f32_e32 v78, v101, v78
	v_fmac_f32_e32 v103, 0xbf7ee86f, v100
	v_mul_f32_e32 v101, 0xbf06c442, v110
	v_add_f32_e32 v80, v103, v80
	v_mov_b32_e32 v103, v101
	v_fmac_f32_e32 v103, 0xbf59a7d5, v99
	v_fmac_f32_e32 v105, 0x3f7ee86f, v100
	v_add_f32_e32 v83, v103, v83
	v_mul_f32_e32 v103, 0xbf59a7d5, v112
	v_add_f32_e32 v81, v105, v81
	v_mov_b32_e32 v105, v103
	v_fma_f32 v101, v99, s17, -v101
	v_sub_f32_e32 v114, v69, v55
	v_fmac_f32_e32 v105, 0x3f06c442, v100
	v_add_f32_e32 v82, v101, v82
	v_add_f32_e32 v101, v54, v68
	v_add_f32_e32 v117, v55, v69
	v_mul_f32_e32 v140, 0x3eb8f4ab, v114
	v_add_f32_e32 v88, v105, v88
	v_fmac_f32_e32 v103, 0xbf06c442, v100
	v_mul_f32_e32 v143, 0x3f6eb680, v117
	v_fma_f32 v105, v101, s20, -v140
	v_add_f32_e32 v87, v103, v87
	v_sub_f32_e32 v103, v68, v54
	v_add_f32_e32 v72, v105, v72
	v_mov_b32_e32 v105, v143
	v_fmac_f32_e32 v105, 0x3eb8f4ab, v103
	v_mul_f32_e32 v146, 0xbf65296c, v114
	v_add_f32_e32 v73, v105, v73
	v_mul_f32_e32 v149, 0x3ee437d1, v117
	v_fma_f32 v105, v101, s19, -v146
	v_add_f32_e32 v74, v105, v74
	v_mov_b32_e32 v105, v149
	v_fmac_f32_e32 v105, 0xbf65296c, v103
	v_mul_f32_e32 v151, 0xbf06c442, v114
	v_add_f32_e32 v75, v105, v75
	v_mul_f32_e32 v153, 0xbf59a7d5, v117
	v_fma_f32 v105, v101, s17, -v151
	v_add_f32_e32 v76, v105, v76
	v_mov_b32_e32 v105, v153
	v_fmac_f32_e32 v105, 0xbf06c442, v103
	v_add_f32_e32 v77, v105, v77
	v_mul_f32_e32 v105, 0x3f4c4adb, v114
	v_mov_b32_e32 v107, v105
	v_fmac_f32_e32 v107, 0xbf1a4643, v101
	v_add_f32_e32 v79, v107, v79
	v_mul_f32_e32 v107, 0xbf1a4643, v117
	v_fma_f32 v105, v101, s16, -v105
	v_mov_b32_e32 v109, v107
	v_add_f32_e32 v78, v105, v78
	v_fmac_f32_e32 v107, 0x3f4c4adb, v103
	v_mul_f32_e32 v105, 0x3f2c7751, v114
	v_add_f32_e32 v80, v107, v80
	v_mov_b32_e32 v107, v105
	v_fmac_f32_e32 v107, 0x3f3d2fb0, v101
	v_fmac_f32_e32 v109, 0xbf4c4adb, v103
	v_add_f32_e32 v83, v107, v83
	v_mul_f32_e32 v107, 0x3f3d2fb0, v117
	v_add_f32_e32 v81, v109, v81
	v_mov_b32_e32 v109, v107
	v_fma_f32 v105, v101, s21, -v105
	v_sub_f32_e32 v120, v71, v53
	v_fmac_f32_e32 v109, 0xbf2c7751, v103
	v_add_f32_e32 v82, v105, v82
	v_add_f32_e32 v105, v52, v70
	v_add_f32_e32 v123, v53, v71
	v_mul_f32_e32 v148, 0xbf65296c, v120
	v_add_f32_e32 v88, v109, v88
	v_fmac_f32_e32 v107, 0x3f2c7751, v103
	v_mul_f32_e32 v150, 0x3ee437d1, v123
	v_fma_f32 v109, v105, s19, -v148
	v_add_f32_e32 v87, v107, v87
	v_sub_f32_e32 v107, v70, v52
	v_add_f32_e32 v72, v109, v72
	v_mov_b32_e32 v109, v150
	v_fmac_f32_e32 v109, 0xbf65296c, v107
	;; [unrolled: 49-line block ×4, first 2 shown]
	v_mul_f32_e32 v164, 0xbeb8f4ab, v134
	v_add_f32_e32 v73, v118, v73
	v_mul_f32_e32 v167, 0x3f6eb680, v137
	v_fma_f32 v118, v113, s20, -v164
	v_add_f32_e32 v173, v118, v74
	v_mov_b32_e32 v74, v167
	v_fmac_f32_e32 v74, 0xbeb8f4ab, v115
	v_mul_f32_e32 v169, 0xbe3c28d5, v134
	v_add_f32_e32 v174, v74, v75
	v_mul_f32_e32 v171, 0xbf7ba420, v137
	v_fma_f32 v74, v113, s18, -v169
	v_add_f32_e32 v76, v74, v76
	v_mov_b32_e32 v74, v171
	v_fmac_f32_e32 v74, 0xbe3c28d5, v115
	v_add_f32_e32 v77, v74, v77
	v_mul_f32_e32 v74, 0x3f2c7751, v134
	v_mov_b32_e32 v75, v74
	v_fmac_f32_e32 v75, 0x3f3d2fb0, v113
	v_add_f32_e32 v175, v75, v79
	v_mul_f32_e32 v75, 0x3f3d2fb0, v137
	v_fma_f32 v74, v113, s21, -v74
	v_mov_b32_e32 v79, v75
	v_add_f32_e32 v176, v74, v78
	v_fmac_f32_e32 v75, 0x3f2c7751, v115
	v_mul_f32_e32 v74, 0xbf763a35, v134
	v_sub_f32_e32 v141, v45, v47
	v_add_f32_e32 v80, v75, v80
	v_mov_b32_e32 v75, v74
	v_fma_f32 v74, v113, s15, -v74
	v_add_f32_e32 v118, v46, v44
	v_add_f32_e32 v145, v47, v45
	v_mul_f32_e32 v166, 0x3f2c7751, v141
	v_fmac_f32_e32 v75, 0xbe8c1d8e, v113
	v_add_f32_e32 v82, v74, v82
	v_mul_f32_e32 v168, 0x3f3d2fb0, v145
	v_fma_f32 v74, v118, s21, -v166
	v_add_f32_e32 v83, v75, v83
	v_mul_f32_e32 v75, 0xbe8c1d8e, v137
	v_sub_f32_e32 v121, v44, v46
	v_add_f32_e32 v74, v74, v72
	v_mov_b32_e32 v72, v168
	v_mov_b32_e32 v78, v75
	v_fmac_f32_e32 v75, 0xbf763a35, v115
	v_fmac_f32_e32 v72, 0x3f2c7751, v121
	v_mul_f32_e32 v170, 0xbf4c4adb, v141
	v_mul_f32_e32 v172, 0xbf1a4643, v145
	v_add_f32_e32 v178, v75, v87
	v_add_f32_e32 v75, v72, v73
	v_fma_f32 v72, v118, s16, -v170
	v_mov_b32_e32 v73, v172
	v_fmac_f32_e32 v78, 0x3f763a35, v115
	v_add_f32_e32 v72, v72, v173
	v_fmac_f32_e32 v73, 0xbf4c4adb, v121
	v_mul_f32_e32 v173, 0x3f65296c, v141
	v_add_f32_e32 v177, v78, v88
	v_add_f32_e32 v73, v73, v174
	v_mul_f32_e32 v174, 0x3ee437d1, v145
	v_fma_f32 v78, v118, s19, -v173
	v_add_f32_e32 v78, v78, v76
	v_mov_b32_e32 v76, v174
	v_fmac_f32_e32 v79, 0xbf2c7751, v115
	v_fmac_f32_e32 v76, 0x3f65296c, v121
	v_add_f32_e32 v81, v79, v81
	v_add_f32_e32 v79, v76, v77
	v_mul_f32_e32 v76, 0xbf763a35, v141
	v_mov_b32_e32 v77, v76
	v_fmac_f32_e32 v77, 0xbe8c1d8e, v118
	v_add_f32_e32 v87, v77, v175
	v_mul_f32_e32 v77, 0xbe8c1d8e, v145
	v_mov_b32_e32 v88, v77
	v_fmac_f32_e32 v77, 0xbf763a35, v121
	v_mul_f32_e32 v175, 0x3f7ee86f, v141
	v_add_f32_e32 v77, v77, v80
	v_mov_b32_e32 v80, v175
	v_fmac_f32_e32 v80, 0x3dbcf732, v118
	v_fmac_f32_e32 v88, 0x3f763a35, v121
	v_add_f32_e32 v80, v80, v83
	v_mul_f32_e32 v83, 0x3dbcf732, v145
	v_add_f32_e32 v88, v88, v81
	v_mov_b32_e32 v81, v83
	v_fma_f32 v76, v118, s15, -v76
	v_fmac_f32_e32 v81, 0xbf7ee86f, v121
	v_fma_f32 v175, v118, s14, -v175
	v_fmac_f32_e32 v83, 0x3f7ee86f, v121
	v_add_f32_e32 v76, v76, v176
	v_add_f32_e32 v81, v81, v177
	;; [unrolled: 1-line block ×4, first 2 shown]
	s_barrier
	s_and_saveexec_b64 s[12:13], s[0:1]
	s_cbranch_execz .LBB0_17
; %bb.16:
	v_mul_f32_e32 v180, 0xbf4c4adb, v96
	v_mul_f32_e32 v186, 0x3f763a35, v98
	v_sub_f32_e32 v131, v131, v180
	v_mul_f32_e32 v192, 0xbeb8f4ab, v100
	v_add_f32_e32 v131, v57, v131
	v_sub_f32_e32 v139, v139, v186
	v_mul_f32_e32 v198, 0xbf06c442, v103
	v_add_f32_e32 v131, v139, v131
	;; [unrolled: 3-line block ×5, first 2 shown]
	v_sub_f32_e32 v139, v165, v210
	v_mul_f32_e32 v179, 0xbf1a4643, v95
	v_mul_f32_e32 v222, 0x3f65296c, v121
	v_add_f32_e32 v131, v139, v131
	v_sub_f32_e32 v139, v171, v216
	v_mul_f32_e32 v185, 0xbe8c1d8e, v97
	v_add_f32_e32 v131, v139, v131
	v_sub_f32_e32 v139, v174, v222
	v_add_f32_e32 v128, v179, v128
	v_mul_f32_e32 v191, 0x3f6eb680, v99
	v_add_f32_e32 v174, v139, v131
	v_add_f32_e32 v128, v56, v128
	;; [unrolled: 1-line block ×3, first 2 shown]
	v_mul_f32_e32 v197, 0xbf59a7d5, v101
	v_add_f32_e32 v128, v131, v128
	v_add_f32_e32 v131, v191, v144
	v_mul_f32_e32 v203, 0x3dbcf732, v105
	v_add_f32_e32 v128, v131, v128
	v_add_f32_e32 v131, v197, v151
	;; [unrolled: 3-line block ×4, first 2 shown]
	v_mul_f32_e32 v178, 0xbf763a35, v96
	v_mul_f32_e32 v221, 0x3ee437d1, v118
	v_add_f32_e32 v128, v131, v128
	v_add_f32_e32 v131, v215, v169
	v_mul_f32_e32 v184, 0x3f06c442, v98
	v_add_f32_e32 v128, v131, v128
	v_add_f32_e32 v131, v221, v173
	v_sub_f32_e32 v125, v125, v178
	v_mul_f32_e32 v190, 0x3f2c7751, v100
	v_add_f32_e32 v173, v131, v128
	v_add_f32_e32 v125, v57, v125
	v_sub_f32_e32 v128, v133, v184
	v_mul_f32_e32 v196, 0xbf65296c, v103
	v_add_f32_e32 v125, v128, v125
	v_sub_f32_e32 v128, v142, v190
	v_mul_f32_e32 v202, 0xbe3c28d5, v107
	;; [unrolled: 3-line block ×5, first 2 shown]
	v_mul_f32_e32 v220, 0xbf4c4adb, v121
	v_add_f32_e32 v125, v128, v125
	v_sub_f32_e32 v128, v167, v214
	v_mul_f32_e32 v183, 0xbf59a7d5, v97
	v_add_f32_e32 v125, v128, v125
	v_sub_f32_e32 v128, v172, v220
	v_add_f32_e32 v122, v177, v122
	v_mul_f32_e32 v189, 0x3f3d2fb0, v99
	v_add_f32_e32 v139, v128, v125
	v_add_f32_e32 v122, v56, v122
	;; [unrolled: 1-line block ×3, first 2 shown]
	v_mul_f32_e32 v195, 0x3ee437d1, v101
	v_add_f32_e32 v122, v125, v122
	v_add_f32_e32 v125, v189, v138
	v_mul_f32_e32 v201, 0xbf7ba420, v105
	v_add_f32_e32 v122, v125, v122
	v_add_f32_e32 v125, v195, v146
	;; [unrolled: 3-line block ×4, first 2 shown]
	v_mul_f32_e32 v176, 0xbf7ee86f, v96
	v_mul_f32_e32 v219, 0xbf1a4643, v118
	v_add_f32_e32 v122, v125, v122
	v_add_f32_e32 v125, v213, v164
	v_mul_f32_e32 v182, 0xbe3c28d5, v98
	v_add_f32_e32 v122, v125, v122
	v_add_f32_e32 v125, v219, v170
	v_sub_f32_e32 v119, v119, v176
	v_mul_f32_e32 v188, 0x3f763a35, v100
	v_add_f32_e32 v138, v125, v122
	v_add_f32_e32 v119, v57, v119
	v_sub_f32_e32 v122, v127, v182
	v_mul_f32_e32 v194, 0x3eb8f4ab, v103
	v_add_f32_e32 v119, v122, v119
	v_sub_f32_e32 v122, v135, v188
	v_mul_f32_e32 v200, 0xbf65296c, v107
	;; [unrolled: 3-line block ×5, first 2 shown]
	v_mul_f32_e32 v218, 0x3f2c7751, v121
	v_add_f32_e32 v119, v122, v119
	v_sub_f32_e32 v122, v162, v212
	v_mul_f32_e32 v181, 0xbf7ba420, v97
	v_add_f32_e32 v119, v122, v119
	v_sub_f32_e32 v122, v168, v218
	v_add_f32_e32 v116, v175, v116
	v_mul_f32_e32 v187, 0xbe8c1d8e, v99
	v_add_f32_e32 v125, v122, v119
	v_add_f32_e32 v116, v56, v116
	;; [unrolled: 1-line block ×3, first 2 shown]
	v_mul_f32_e32 v193, 0x3f6eb680, v101
	v_add_f32_e32 v116, v119, v116
	v_add_f32_e32 v119, v187, v132
	v_mul_f32_e32 v199, 0x3ee437d1, v105
	v_add_f32_e32 v116, v119, v116
	v_add_f32_e32 v119, v193, v140
	;; [unrolled: 3-line block ×5, first 2 shown]
	v_add_f32_e32 v116, v119, v116
	v_add_f32_e32 v119, v217, v166
	;; [unrolled: 1-line block ×3, first 2 shown]
	v_mul_f32_e32 v119, 0x3ee437d1, v104
	v_mov_b32_e32 v116, v119
	v_mul_f32_e32 v122, 0xbf1a4643, v108
	v_fmac_f32_e32 v116, 0x3f65296c, v96
	v_mov_b32_e32 v127, v122
	v_add_f32_e32 v116, v57, v116
	v_fmac_f32_e32 v127, 0x3f4c4adb, v98
	v_mul_f32_e32 v129, 0xbf7ba420, v112
	v_add_f32_e32 v116, v127, v116
	v_mov_b32_e32 v127, v129
	v_fmac_f32_e32 v127, 0xbe3c28d5, v100
	v_mul_f32_e32 v133, 0xbe8c1d8e, v117
	v_add_f32_e32 v116, v127, v116
	v_mov_b32_e32 v127, v133
	;; [unrolled: 4-line block ×7, first 2 shown]
	v_mul_f32_e32 v144, 0xbf4c4adb, v106
	v_fmac_f32_e32 v116, 0x3ee437d1, v95
	v_mov_b32_e32 v127, v144
	v_add_f32_e32 v116, v56, v116
	v_fmac_f32_e32 v127, 0xbf1a4643, v97
	v_mul_f32_e32 v146, 0x3e3c28d5, v110
	v_add_f32_e32 v116, v127, v116
	v_mov_b32_e32 v127, v146
	v_add_f32_e32 v59, v59, v57
	v_fmac_f32_e32 v127, 0xbf7ba420, v99
	v_mul_f32_e32 v147, 0x3f763a35, v114
	v_add_f32_e32 v59, v61, v59
	v_add_f32_e32 v116, v127, v116
	v_mov_b32_e32 v127, v147
	v_add_f32_e32 v59, v63, v59
	v_fmac_f32_e32 v127, 0xbe8c1d8e, v101
	v_mul_f32_e32 v148, 0x3f2c7751, v120
	v_add_f32_e32 v59, v69, v59
	;; [unrolled: 6-line block ×6, first 2 shown]
	v_add_f32_e32 v127, v127, v116
	v_mov_b32_e32 v116, v152
	v_mul_f32_e32 v153, 0x3dbcf732, v108
	v_add_f32_e32 v45, v55, v45
	v_fmac_f32_e32 v116, 0x3f2c7751, v96
	v_mov_b32_e32 v131, v153
	v_add_f32_e32 v1, v1, v45
	v_add_f32_e32 v116, v57, v116
	v_fmac_f32_e32 v131, 0x3f7ee86f, v98
	v_mul_f32_e32 v154, 0xbf1a4643, v112
	v_add_f32_e32 v1, v3, v1
	v_add_f32_e32 v3, v58, v56
	;; [unrolled: 1-line block ×3, first 2 shown]
	v_mov_b32_e32 v131, v154
	v_add_f32_e32 v3, v60, v3
	v_fmac_f32_e32 v131, 0x3f4c4adb, v100
	v_mul_f32_e32 v155, 0xbf7ba420, v117
	v_add_f32_e32 v3, v62, v3
	v_add_f32_e32 v116, v131, v116
	v_mov_b32_e32 v131, v155
	v_add_f32_e32 v3, v68, v3
	v_fmac_f32_e32 v131, 0x3e3c28d5, v103
	v_mul_f32_e32 v156, 0xbf59a7d5, v123
	v_add_f32_e32 v3, v70, v3
	v_add_f32_e32 v116, v131, v116
	;; [unrolled: 6-line block ×6, first 2 shown]
	v_mov_b32_e32 v116, v160
	v_mul_f32_e32 v161, 0xbf7ee86f, v106
	v_add_f32_e32 v0, v0, v3
	v_fmac_f32_e32 v119, 0xbf65296c, v96
	v_fmac_f32_e32 v116, 0x3f3d2fb0, v95
	v_mov_b32_e32 v131, v161
	v_add_f32_e32 v0, v2, v0
	v_add_f32_e32 v2, v57, v119
	v_fmac_f32_e32 v122, 0xbf4c4adb, v98
	v_add_f32_e32 v116, v56, v116
	v_fmac_f32_e32 v131, 0x3dbcf732, v97
	v_mul_f32_e32 v162, 0xbf4c4adb, v110
	v_add_f32_e32 v2, v122, v2
	v_fmac_f32_e32 v129, 0x3e3c28d5, v100
	v_add_f32_e32 v116, v131, v116
	v_mov_b32_e32 v131, v162
	v_add_f32_e32 v2, v129, v2
	v_fmac_f32_e32 v133, 0x3f763a35, v103
	v_fmac_f32_e32 v131, 0xbf1a4643, v99
	v_mul_f32_e32 v163, 0xbe3c28d5, v114
	v_add_f32_e32 v2, v133, v2
	v_fmac_f32_e32 v135, 0x3f2c7751, v107
	v_add_f32_e32 v116, v131, v116
	v_mov_b32_e32 v131, v163
	v_add_f32_e32 v2, v135, v2
	v_fmac_f32_e32 v136, 0xbeb8f4ab, v111
	;; [unrolled: 8-line block ×3, first 2 shown]
	v_fmac_f32_e32 v131, 0xbf59a7d5, v105
	v_mul_f32_e32 v165, 0x3f763a35, v126
	v_add_f32_e32 v3, v142, v2
	v_fma_f32 v2, v95, s19, -v143
	v_add_f32_e32 v116, v131, v116
	v_mov_b32_e32 v131, v165
	v_add_f32_e32 v2, v56, v2
	v_fma_f32 v44, v97, s16, -v144
	v_fmac_f32_e32 v131, 0xbe8c1d8e, v109
	v_mul_f32_e32 v166, 0x3f65296c, v134
	v_add_f32_e32 v2, v44, v2
	v_fma_f32 v44, v99, s18, -v146
	v_add_f32_e32 v116, v131, v116
	v_mov_b32_e32 v131, v166
	v_add_f32_e32 v2, v44, v2
	v_fma_f32 v44, v101, s15, -v147
	;; [unrolled: 8-line block ×3, first 2 shown]
	v_fmac_f32_e32 v131, 0x3f6eb680, v118
	v_mul_f32_e32 v104, 0x3f6eb680, v104
	v_add_f32_e32 v2, v44, v2
	v_fma_f32 v44, v113, s14, -v150
	v_add_f32_e32 v131, v131, v116
	v_mov_b32_e32 v116, v104
	v_mul_f32_e32 v108, 0x3f3d2fb0, v108
	v_add_f32_e32 v2, v44, v2
	v_fma_f32 v44, v118, s17, -v151
	v_fmac_f32_e32 v152, 0xbf2c7751, v96
	v_fmac_f32_e32 v116, 0x3eb8f4ab, v96
	v_mov_b32_e32 v168, v108
	v_add_f32_e32 v2, v44, v2
	v_add_f32_e32 v44, v57, v152
	v_fmac_f32_e32 v153, 0xbf7ee86f, v98
	v_add_f32_e32 v116, v57, v116
	v_fmac_f32_e32 v168, 0x3f2c7751, v98
	v_mul_f32_e32 v112, 0x3ee437d1, v112
	v_add_f32_e32 v44, v153, v44
	v_fmac_f32_e32 v154, 0xbf4c4adb, v100
	v_add_f32_e32 v116, v168, v116
	v_mov_b32_e32 v168, v112
	v_add_f32_e32 v44, v154, v44
	v_fmac_f32_e32 v155, 0xbe3c28d5, v103
	v_fmac_f32_e32 v168, 0x3f65296c, v100
	v_add_f32_e32 v44, v155, v44
	v_fmac_f32_e32 v156, 0x3f06c442, v107
	v_add_f32_e32 v116, v168, v116
	v_mul_f32_e32 v168, 0x3dbcf732, v117
	v_add_f32_e32 v44, v156, v44
	v_fmac_f32_e32 v157, 0x3f763a35, v111
	v_mov_b32_e32 v117, v168
	v_add_f32_e32 v44, v157, v44
	v_fmac_f32_e32 v158, 0x3f65296c, v115
	v_fmac_f32_e32 v117, 0x3f7ee86f, v103
	v_mul_f32_e32 v123, 0xbe8c1d8e, v123
	v_add_f32_e32 v44, v158, v44
	v_fmac_f32_e32 v159, 0x3eb8f4ab, v121
	v_add_f32_e32 v116, v117, v116
	v_mov_b32_e32 v117, v123
	v_add_f32_e32 v45, v159, v44
	v_fma_f32 v44, v95, s21, -v160
	v_fmac_f32_e32 v117, 0x3f763a35, v107
	v_mul_f32_e32 v130, 0xbf1a4643, v130
	v_add_f32_e32 v44, v56, v44
	v_fma_f32 v46, v97, s14, -v161
	v_add_f32_e32 v116, v117, v116
	v_mov_b32_e32 v117, v130
	v_add_f32_e32 v44, v46, v44
	v_fma_f32 v46, v99, s16, -v162
	v_fmac_f32_e32 v117, 0x3f4c4adb, v111
	v_mul_f32_e32 v137, 0xbf59a7d5, v137
	v_add_f32_e32 v44, v46, v44
	v_fma_f32 v46, v101, s18, -v163
	;; [unrolled: 8-line block ×4, first 2 shown]
	v_fmac_f32_e32 v104, 0xbeb8f4ab, v96
	v_add_f32_e32 v117, v117, v116
	v_mov_b32_e32 v116, v102
	v_mul_f32_e32 v106, 0xbf2c7751, v106
	v_add_f32_e32 v44, v46, v44
	v_add_f32_e32 v46, v57, v104
	v_fmac_f32_e32 v108, 0xbf2c7751, v98
	v_fmac_f32_e32 v116, 0x3f6eb680, v95
	v_mov_b32_e32 v169, v106
	v_add_f32_e32 v46, v108, v46
	v_fmac_f32_e32 v112, 0xbf65296c, v100
	v_add_f32_e32 v116, v56, v116
	v_fmac_f32_e32 v169, 0x3f3d2fb0, v97
	v_mul_f32_e32 v110, 0xbf65296c, v110
	v_add_f32_e32 v46, v112, v46
	v_fmac_f32_e32 v168, 0xbf7ee86f, v103
	v_add_f32_e32 v116, v169, v116
	v_mov_b32_e32 v169, v110
	v_add_f32_e32 v46, v168, v46
	v_fmac_f32_e32 v123, 0xbf763a35, v107
	v_fmac_f32_e32 v169, 0x3ee437d1, v99
	v_mul_f32_e32 v114, 0xbf7ee86f, v114
	v_add_f32_e32 v46, v123, v46
	v_fmac_f32_e32 v130, 0xbf4c4adb, v111
	v_add_f32_e32 v116, v169, v116
	v_mov_b32_e32 v169, v114
	v_add_f32_e32 v46, v130, v46
	v_fmac_f32_e32 v137, 0xbf06c442, v115
	v_fmac_f32_e32 v169, 0x3dbcf732, v101
	v_mul_f32_e32 v120, 0xbf763a35, v120
	v_add_f32_e32 v46, v137, v46
	v_fmac_f32_e32 v145, 0xbe3c28d5, v121
	v_add_f32_e32 v116, v169, v116
	v_mov_b32_e32 v169, v120
	v_add_f32_e32 v47, v145, v46
	v_fma_f32 v46, v95, s20, -v102
	v_fmac_f32_e32 v169, 0xbe8c1d8e, v105
	v_mul_f32_e32 v126, 0xbf4c4adb, v126
	v_add_f32_e32 v46, v56, v46
	v_fma_f32 v48, v97, s21, -v106
	v_add_f32_e32 v116, v169, v116
	v_mov_b32_e32 v169, v126
	v_add_f32_e32 v46, v48, v46
	v_fma_f32 v48, v99, s19, -v110
	v_fmac_f32_e32 v169, 0xbf1a4643, v109
	v_mul_f32_e32 v134, 0xbf06c442, v134
	v_add_f32_e32 v46, v48, v46
	v_fma_f32 v48, v101, s14, -v114
	;; [unrolled: 8-line block ×3, first 2 shown]
	v_add_f32_e32 v116, v169, v116
	v_mov_b32_e32 v169, v141
	v_add_f32_e32 v46, v48, v46
	v_fma_f32 v48, v113, s17, -v134
	v_fmac_f32_e32 v169, 0xbf7ba420, v118
	v_add_f32_e32 v46, v48, v46
	v_fma_f32 v48, v118, s18, -v141
	v_add_f32_e32 v116, v169, v116
	v_add_f32_e32 v1, v86, v1
	;; [unrolled: 1-line block ×4, first 2 shown]
	v_lshlrev_b32_e32 v48, 3, v91
	ds_write2_b64 v48, v[0:1], v[116:117] offset1:1
	ds_write2_b64 v48, v[131:132], v[127:128] offset0:2 offset1:3
	ds_write2_b64 v48, v[124:125], v[138:139] offset0:4 offset1:5
	;; [unrolled: 1-line block ×7, first 2 shown]
	ds_write_b64 v48, v[46:47] offset:128
.LBB0_17:
	s_or_b64 exec, exec, s[12:13]
	v_add_u32_e32 v55, 0x800, v89
	v_add_u32_e32 v54, 0x1000, v89
	s_waitcnt lgkmcnt(0)
	s_barrier
	ds_read2_b64 v[0:3], v89 offset1:153
	ds_read2_b64 v[48:51], v55 offset0:50 offset1:203
	ds_read2_b64 v[44:47], v54 offset0:100 offset1:253
	ds_read_b64 v[52:53], v89 offset:7344
	s_and_saveexec_b64 s[12:13], s[2:3]
	s_cbranch_execz .LBB0_19
; %bb.18:
	ds_read_b64 v[87:88], v89 offset:952
	ds_read2_b64 v[80:83], v55 offset0:16 offset1:169
	ds_read2_b64 v[76:79], v54 offset0:66 offset1:219
	v_add_u32_e32 v54, 0x1a00, v89
	ds_read2_b64 v[72:75], v54 offset0:52 offset1:205
.LBB0_19:
	s_or_b64 exec, exec, s[12:13]
	s_waitcnt lgkmcnt(3)
	v_mul_f32_e32 v54, v21, v3
	v_fmac_f32_e32 v54, v20, v2
	v_mul_f32_e32 v2, v21, v2
	s_waitcnt lgkmcnt(2)
	v_mul_f32_e32 v21, v17, v51
	v_mul_f32_e32 v17, v17, v50
	v_fma_f32 v2, v20, v3, -v2
	v_mul_f32_e32 v3, v23, v49
	v_mul_f32_e32 v20, v23, v48
	v_fmac_f32_e32 v21, v16, v50
	v_fma_f32 v16, v16, v51, -v17
	s_waitcnt lgkmcnt(1)
	v_mul_f32_e32 v17, v19, v45
	v_mul_f32_e32 v19, v19, v44
	v_fmac_f32_e32 v3, v22, v48
	v_fma_f32 v20, v22, v49, -v20
	v_fmac_f32_e32 v17, v18, v44
	v_fma_f32 v18, v18, v45, -v19
	v_mul_f32_e32 v19, v25, v47
	v_mul_f32_e32 v22, v25, v46
	v_fmac_f32_e32 v19, v24, v46
	v_fma_f32 v22, v24, v47, -v22
	s_waitcnt lgkmcnt(0)
	v_mul_f32_e32 v23, v27, v53
	v_mul_f32_e32 v24, v27, v52
	v_fmac_f32_e32 v23, v26, v52
	v_fma_f32 v24, v26, v53, -v24
	v_add_f32_e32 v25, v54, v23
	v_add_f32_e32 v26, v2, v24
	v_sub_f32_e32 v2, v2, v24
	v_add_f32_e32 v24, v3, v19
	v_add_f32_e32 v27, v20, v22
	v_sub_f32_e32 v3, v3, v19
	v_sub_f32_e32 v19, v20, v22
	v_add_f32_e32 v20, v21, v17
	v_add_f32_e32 v22, v16, v18
	v_sub_f32_e32 v16, v18, v16
	v_add_f32_e32 v18, v24, v25
	v_sub_f32_e32 v17, v17, v21
	v_add_f32_e32 v21, v27, v26
	v_add_f32_e32 v18, v20, v18
	v_sub_f32_e32 v44, v24, v25
	v_sub_f32_e32 v25, v25, v20
	;; [unrolled: 1-line block ×3, first 2 shown]
	v_add_f32_e32 v20, v22, v21
	v_add_f32_e32 v0, v0, v18
	v_sub_f32_e32 v23, v54, v23
	v_sub_f32_e32 v45, v27, v26
	;; [unrolled: 1-line block ×4, first 2 shown]
	v_add_f32_e32 v46, v17, v3
	v_add_f32_e32 v47, v16, v19
	v_sub_f32_e32 v48, v17, v3
	v_sub_f32_e32 v49, v16, v19
	v_add_f32_e32 v1, v1, v20
	v_mov_b32_e32 v50, v0
	v_sub_f32_e32 v17, v23, v17
	v_sub_f32_e32 v16, v2, v16
	;; [unrolled: 1-line block ×4, first 2 shown]
	v_add_f32_e32 v21, v46, v23
	v_add_f32_e32 v2, v47, v2
	v_mul_f32_e32 v22, 0x3f4a47b2, v25
	v_mul_f32_e32 v23, 0x3f4a47b2, v26
	;; [unrolled: 1-line block ×6, first 2 shown]
	s_mov_b32 s14, 0xbf5ff5aa
	v_fmac_f32_e32 v50, 0xbf955555, v18
	v_mov_b32_e32 v18, v1
	s_mov_b32 s15, 0x3f3bfb3b
	s_mov_b32 s16, 0xbf3bfb3b
	v_mul_f32_e32 v48, 0xbf5ff5aa, v3
	v_mul_f32_e32 v49, 0xbf5ff5aa, v19
	v_fmac_f32_e32 v18, 0xbf955555, v20
	v_fma_f32 v20, v44, s15, -v25
	v_fma_f32 v25, v45, s15, -v26
	;; [unrolled: 1-line block ×3, first 2 shown]
	v_fmac_f32_e32 v22, 0x3d64c772, v24
	v_fma_f32 v24, v45, s16, -v23
	v_fmac_f32_e32 v23, 0x3d64c772, v27
	v_fma_f32 v27, v3, s14, -v46
	;; [unrolled: 2-line block ×3, first 2 shown]
	v_fmac_f32_e32 v47, 0xbeae86e6, v16
	s_mov_b32 s17, 0x3eae86e6
	v_fma_f32 v45, v17, s17, -v48
	v_fma_f32 v48, v16, s17, -v49
	v_add_f32_e32 v49, v22, v50
	v_add_f32_e32 v51, v23, v18
	v_fmac_f32_e32 v46, 0xbee1c552, v21
	v_fmac_f32_e32 v47, 0xbee1c552, v2
	v_add_f32_e32 v20, v20, v50
	v_add_f32_e32 v22, v25, v18
	;; [unrolled: 1-line block ×4, first 2 shown]
	v_fmac_f32_e32 v27, 0xbee1c552, v21
	v_fmac_f32_e32 v44, 0xbee1c552, v2
	;; [unrolled: 1-line block ×4, first 2 shown]
	v_add_f32_e32 v2, v47, v49
	v_sub_f32_e32 v3, v51, v46
	v_add_f32_e32 v16, v48, v23
	v_sub_f32_e32 v17, v24, v45
	v_sub_f32_e32 v18, v20, v44
	v_add_f32_e32 v19, v27, v22
	v_add_f32_e32 v20, v44, v20
	v_sub_f32_e32 v21, v22, v27
	v_sub_f32_e32 v22, v23, v48
	v_add_f32_e32 v23, v45, v24
	v_sub_f32_e32 v24, v49, v47
	v_add_f32_e32 v25, v46, v51
	s_barrier
	ds_write2_b64 v94, v[0:1], v[2:3] offset1:17
	ds_write2_b64 v94, v[16:17], v[18:19] offset0:34 offset1:51
	ds_write2_b64 v94, v[20:21], v[22:23] offset0:68 offset1:85
	ds_write_b64 v94, v[24:25] offset:816
	s_and_saveexec_b64 s[12:13], s[2:3]
	s_cbranch_execz .LBB0_21
; %bb.20:
	v_mul_f32_e32 v0, v5, v81
	v_mul_f32_e32 v2, v11, v75
	;; [unrolled: 1-line block ×6, first 2 shown]
	v_fmac_f32_e32 v0, v4, v80
	v_fmac_f32_e32 v2, v10, v74
	;; [unrolled: 1-line block ×6, first 2 shown]
	v_sub_f32_e32 v16, v0, v2
	v_sub_f32_e32 v1, v17, v18
	;; [unrolled: 1-line block ×5, first 2 shown]
	v_add_f32_e32 v1, v1, v22
	v_add_f32_e32 v25, v1, v16
	v_mul_f32_e32 v1, v11, v74
	v_fma_f32 v10, v10, v75, -v1
	v_mul_f32_e32 v1, v5, v80
	v_fma_f32 v4, v4, v81, -v1
	;; [unrolled: 2-line block ×4, first 2 shown]
	v_add_f32_e32 v26, v2, v0
	v_add_f32_e32 v0, v18, v17
	;; [unrolled: 1-line block ×4, first 2 shown]
	v_sub_f32_e32 v2, v26, v0
	v_mul_f32_e32 v23, 0x3f08b237, v3
	v_sub_f32_e32 v3, v5, v1
	v_mul_f32_e32 v17, 0x3f4a47b2, v2
	v_add_f32_e32 v18, v21, v20
	v_mul_f32_e32 v13, 0x3f4a47b2, v3
	v_mul_f32_e32 v3, v9, v72
	v_sub_f32_e32 v2, v0, v18
	v_mov_b32_e32 v21, v17
	v_fma_f32 v8, v8, v73, -v3
	v_mul_f32_e32 v3, v7, v82
	v_mul_f32_e32 v20, 0x3d64c772, v2
	v_fmac_f32_e32 v21, 0x3d64c772, v2
	v_add_f32_e32 v2, v18, v26
	v_fma_f32 v6, v6, v83, -v3
	v_add_f32_e32 v2, v0, v2
	v_add_f32_e32 v7, v8, v6
	;; [unrolled: 1-line block ×3, first 2 shown]
	v_sub_f32_e32 v3, v1, v7
	v_mov_b32_e32 v14, v13
	v_mov_b32_e32 v27, v0
	v_mul_f32_e32 v9, 0x3d64c772, v3
	v_fmac_f32_e32 v14, 0x3d64c772, v3
	v_add_f32_e32 v3, v7, v5
	v_fmac_f32_e32 v27, 0xbf955555, v2
	v_sub_f32_e32 v2, v12, v11
	v_sub_f32_e32 v6, v6, v8
	v_add_f32_e32 v3, v1, v3
	v_sub_f32_e32 v4, v4, v10
	v_sub_f32_e32 v8, v2, v6
	v_add_f32_e32 v1, v88, v3
	v_sub_f32_e32 v10, v4, v2
	v_mul_f32_e32 v8, 0x3f08b237, v8
	v_add_f32_e32 v2, v2, v6
	v_sub_f32_e32 v16, v22, v16
	v_sub_f32_e32 v6, v6, v4
	v_mov_b32_e32 v24, v23
	v_mov_b32_e32 v15, v1
	;; [unrolled: 1-line block ×3, first 2 shown]
	v_add_f32_e32 v11, v2, v4
	v_mul_f32_e32 v22, 0xbf5ff5aa, v16
	v_sub_f32_e32 v7, v7, v5
	v_sub_f32_e32 v18, v18, v26
	v_mul_f32_e32 v4, 0xbf5ff5aa, v6
	v_fmac_f32_e32 v24, 0xbeae86e6, v19
	v_fmac_f32_e32 v15, 0xbf955555, v3
	;; [unrolled: 1-line block ×3, first 2 shown]
	v_fma_f32 v19, v19, s17, -v22
	v_fma_f32 v5, v7, s16, -v13
	;; [unrolled: 1-line block ×5, first 2 shown]
	v_fmac_f32_e32 v24, 0xbee1c552, v25
	v_add_f32_e32 v14, v14, v15
	v_fmac_f32_e32 v12, 0xbee1c552, v11
	v_fmac_f32_e32 v19, 0xbee1c552, v25
	v_add_f32_e32 v13, v5, v15
	v_fmac_f32_e32 v10, 0xbee1c552, v11
	v_fma_f32 v7, v7, s15, -v9
	v_fmac_f32_e32 v8, 0xbee1c552, v11
	v_add_f32_e32 v11, v6, v27
	v_add_f32_e32 v3, v24, v14
	;; [unrolled: 1-line block ×4, first 2 shown]
	v_fma_f32 v17, v18, s16, -v17
	v_add_f32_e32 v9, v7, v15
	v_fma_f32 v15, v16, s14, -v23
	v_add_f32_e32 v6, v8, v11
	v_sub_f32_e32 v8, v11, v8
	v_sub_f32_e32 v11, v13, v19
	;; [unrolled: 1-line block ×3, first 2 shown]
	v_mul_u32_u24_e32 v14, 0x77, v92
	v_sub_f32_e32 v2, v21, v12
	v_add_f32_e32 v17, v17, v27
	v_fmac_f32_e32 v15, 0xbee1c552, v25
	v_add_f32_e32 v12, v12, v21
	v_add_lshl_u32 v14, v14, v93, 3
	v_sub_f32_e32 v4, v17, v10
	v_sub_f32_e32 v7, v9, v15
	v_add_f32_e32 v9, v15, v9
	v_add_f32_e32 v10, v10, v17
	ds_write2_b64 v14, v[0:1], v[12:13] offset1:17
	ds_write2_b64 v14, v[10:11], v[8:9] offset0:34 offset1:51
	ds_write2_b64 v14, v[6:7], v[4:5] offset0:68 offset1:85
	ds_write_b64 v14, v[2:3] offset:816
.LBB0_21:
	s_or_b64 exec, exec, s[12:13]
	s_waitcnt lgkmcnt(0)
	s_barrier
	ds_read_b64 v[19:20], v89
	ds_read2_b64 v[3:6], v89 offset0:119 offset1:238
	v_add_u32_e32 v2, 0x800, v89
	ds_read2_b64 v[7:10], v2 offset0:101 offset1:220
	v_add_u32_e32 v1, 0x1000, v89
	ds_read2_b64 v[11:14], v1 offset0:83 offset1:202
	s_waitcnt lgkmcnt(2)
	v_mul_f32_e32 v21, v41, v4
	v_fmac_f32_e32 v21, v40, v3
	v_mul_f32_e32 v3, v41, v3
	v_fma_f32 v3, v40, v4, -v3
	v_mul_f32_e32 v4, v43, v6
	v_add_u32_e32 v0, 0x1800, v89
	v_fmac_f32_e32 v4, v42, v5
	v_mul_f32_e32 v5, v43, v5
	ds_read2_b64 v[15:18], v0 offset0:65 offset1:184
	v_fma_f32 v5, v42, v6, -v5
	s_waitcnt lgkmcnt(2)
	v_mul_f32_e32 v6, v37, v8
	v_fmac_f32_e32 v6, v36, v7
	v_mul_f32_e32 v7, v37, v7
	v_fma_f32 v7, v36, v8, -v7
	v_mul_f32_e32 v8, v39, v9
	v_fma_f32 v23, v38, v10, -v8
	s_waitcnt lgkmcnt(1)
	v_mul_f32_e32 v8, v33, v11
	v_mul_f32_e32 v22, v39, v10
	v_fma_f32 v25, v32, v12, -v8
	v_mul_f32_e32 v8, v35, v14
	v_fmac_f32_e32 v22, v38, v9
	v_mul_f32_e32 v24, v33, v12
	v_fmac_f32_e32 v8, v34, v13
	v_mul_f32_e32 v9, v35, v13
	s_waitcnt lgkmcnt(0)
	v_mul_f32_e32 v12, v31, v18
	v_mul_f32_e32 v13, v31, v17
	v_fmac_f32_e32 v24, v32, v11
	v_mul_f32_e32 v10, v29, v16
	v_mul_f32_e32 v11, v29, v15
	v_fmac_f32_e32 v12, v30, v17
	v_fma_f32 v13, v30, v18, -v13
	v_fmac_f32_e32 v10, v28, v15
	v_fma_f32 v11, v28, v16, -v11
	v_sub_f32_e32 v15, v21, v12
	v_sub_f32_e32 v16, v3, v13
	v_fma_f32 v9, v34, v14, -v9
	v_add_f32_e32 v17, v21, v12
	v_add_f32_e32 v27, v5, v11
	;; [unrolled: 1-line block ×3, first 2 shown]
	v_sub_f32_e32 v21, v4, v10
	v_sub_f32_e32 v30, v5, v11
	;; [unrolled: 1-line block ×3, first 2 shown]
	v_mul_f32_e32 v6, 0x3f248dbb, v15
	v_mul_f32_e32 v5, 0x3f248dbb, v16
	v_sub_f32_e32 v33, v22, v24
	v_sub_f32_e32 v34, v23, v25
	v_add_f32_e32 v26, v4, v10
	v_add_f32_e32 v29, v7, v9
	v_sub_f32_e32 v32, v7, v9
	v_fmac_f32_e32 v6, 0x3f7c1c5c, v21
	v_fmac_f32_e32 v5, 0x3f7c1c5c, v30
	v_mul_f32_e32 v10, 0xbf248dbb, v33
	v_mul_f32_e32 v9, 0xbf248dbb, v34
	v_fmac_f32_e32 v6, 0x3f5db3d7, v31
	v_fmac_f32_e32 v5, 0x3f5db3d7, v32
	;; [unrolled: 1-line block ×6, first 2 shown]
	s_mov_b32 s3, 0xbf248dbb
	v_fmac_f32_e32 v10, 0xbf5db3d7, v31
	v_fmac_f32_e32 v9, 0xbf5db3d7, v32
	v_add_f32_e32 v11, v33, v15
	v_add_f32_e32 v12, v34, v16
	v_mul_f32_e32 v33, 0x3f7c1c5c, v33
	v_mul_f32_e32 v34, 0x3f7c1c5c, v34
	v_add_f32_e32 v18, v3, v13
	v_fmac_f32_e32 v10, 0x3eaf1d44, v21
	v_fmac_f32_e32 v9, 0x3eaf1d44, v30
	v_sub_f32_e32 v13, v11, v21
	v_sub_f32_e32 v14, v12, v30
	v_fma_f32 v21, v21, s3, -v33
	v_fma_f32 v30, v30, s3, -v34
	v_add_f32_e32 v39, v26, v17
	v_add_f32_e32 v40, v27, v18
	v_fmac_f32_e32 v21, 0x3f5db3d7, v31
	v_fmac_f32_e32 v30, 0x3f5db3d7, v32
	v_fmac_f32_e32 v21, 0x3eaf1d44, v15
	v_fmac_f32_e32 v30, 0x3eaf1d44, v16
	v_add_f32_e32 v15, v28, v39
	v_add_f32_e32 v16, v29, v40
	v_mov_b32_e32 v3, v19
	v_add_f32_e32 v15, v22, v15
	v_add_f32_e32 v16, v23, v16
	v_fmac_f32_e32 v3, 0x3f441b7d, v17
	v_mov_b32_e32 v4, v20
	v_add_f32_e32 v35, v22, v24
	v_add_f32_e32 v36, v23, v25
	v_mov_b32_e32 v7, v19
	v_mov_b32_e32 v8, v20
	v_add_f32_e32 v15, v24, v15
	v_add_f32_e32 v16, v25, v16
	v_fmac_f32_e32 v4, 0x3f441b7d, v18
	v_fmac_f32_e32 v3, 0x3e31d0d4, v26
	;; [unrolled: 1-line block ×4, first 2 shown]
	v_add_f32_e32 v11, v28, v19
	v_add_f32_e32 v12, v29, v20
	;; [unrolled: 1-line block ×4, first 2 shown]
	v_fmac_f32_e32 v19, 0x3f441b7d, v26
	v_fmac_f32_e32 v20, 0x3f441b7d, v27
	;; [unrolled: 1-line block ×3, first 2 shown]
	v_fmac_f32_e32 v3, -0.5, v28
	v_fmac_f32_e32 v7, 0x3e31d0d4, v17
	v_fmac_f32_e32 v8, 0x3e31d0d4, v18
	;; [unrolled: 1-line block ×4, first 2 shown]
	v_fmac_f32_e32 v4, -0.5, v29
	v_fmac_f32_e32 v3, 0xbf708fb2, v35
	v_fmac_f32_e32 v7, -0.5, v28
	v_fmac_f32_e32 v8, -0.5, v29
	v_add_f32_e32 v41, v35, v39
	v_add_f32_e32 v42, v36, v40
	v_fmac_f32_e32 v19, -0.5, v28
	v_fmac_f32_e32 v20, -0.5, v29
	v_fmac_f32_e32 v4, 0xbf708fb2, v36
	v_sub_f32_e32 v3, v3, v5
	v_fmac_f32_e32 v7, 0xbf708fb2, v26
	v_fmac_f32_e32 v8, 0xbf708fb2, v27
	v_fmac_f32_e32 v11, -0.5, v41
	v_fmac_f32_e32 v12, -0.5, v42
	v_fmac_f32_e32 v19, 0xbf708fb2, v17
	v_fmac_f32_e32 v20, 0xbf708fb2, v18
	v_add_f32_e32 v4, v6, v4
	v_fma_f32 v5, 2.0, v5, v3
	v_sub_f32_e32 v7, v7, v9
	v_add_f32_e32 v8, v10, v8
	v_fmac_f32_e32 v11, 0xbf5db3d7, v14
	v_fmac_f32_e32 v12, 0x3f5db3d7, v13
	v_sub_f32_e32 v17, v19, v30
	v_add_f32_e32 v18, v21, v20
	ds_write_b64 v89, v[15:16]
	ds_write_b64 v89, v[3:4] offset:952
	v_add_u32_e32 v3, 0x400, v89
	v_fma_f32 v6, -2.0, v6, v4
	ds_write2_b64 v3, v[7:8], v[11:12] offset0:110 offset1:229
	v_mov_b32_e32 v4, v18
	v_mov_b32_e32 v3, v17
	v_fma_f32 v9, 2.0, v9, v7
	v_mul_f32_e32 v37, 0x3f5db3d7, v13
	v_mul_f32_e32 v38, 0x3f5db3d7, v14
	v_fmac_f32_e32 v4, -2.0, v21
	v_fmac_f32_e32 v3, 2.0, v30
	v_add_u32_e32 v7, 0xc00, v89
	s_movk_i32 s2, 0x1000
	v_fma_f32 v10, -2.0, v10, v8
	v_fma_f32 v13, 2.0, v38, v11
	v_fma_f32 v14, -2.0, v37, v12
	ds_write2_b64 v7, v[17:18], v[3:4] offset0:92 offset1:211
	v_add_u32_e32 v3, 0x1400, v89
	ds_write2_b64 v3, v[13:14], v[9:10] offset0:74 offset1:193
	ds_write_b64 v89, v[5:6] offset:7616
	s_waitcnt lgkmcnt(0)
	s_barrier
	s_and_b64 exec, exec, s[0:1]
	s_cbranch_execz .LBB0_23
; %bb.22:
	global_load_dwordx2 v[3:4], v89, s[8:9]
	ds_read_b64 v[5:6], v89
	v_mad_u64_u32 v[7:8], s[0:1], s6, v84, 0
	v_mad_u64_u32 v[9:10], s[0:1], s4, v90, 0
	s_mov_b32 s0, 0x1e98801f
	s_mov_b32 s1, 0x3f4e9880
	v_mad_u64_u32 v[11:12], s[6:7], s7, v84, v[8:9]
	v_mov_b32_e32 v14, s11
	s_mul_i32 s3, s4, 0x1f8
	v_mad_u64_u32 v[12:13], s[6:7], s5, v90, v[10:11]
	s_mulk_i32 s5, 0x1f8
	s_mul_hi_u32 s6, s4, 0x1f8
	v_mov_b32_e32 v10, v12
	v_lshlrev_b64 v[9:10], 3, v[9:10]
	s_add_i32 s4, s6, s5
	s_waitcnt vmcnt(0) lgkmcnt(0)
	v_mul_f32_e32 v8, v6, v4
	v_mul_f32_e32 v4, v5, v4
	v_fmac_f32_e32 v8, v5, v3
	v_fma_f32 v5, v3, v6, -v4
	v_cvt_f64_f32_e32 v[3:4], v8
	v_cvt_f64_f32_e32 v[5:6], v5
	v_mov_b32_e32 v8, v11
	v_lshlrev_b64 v[7:8], 3, v[7:8]
	v_mul_f64 v[3:4], v[3:4], s[0:1]
	v_mul_f64 v[5:6], v[5:6], s[0:1]
	v_add_co_u32_e32 v7, vcc, s10, v7
	v_addc_co_u32_e32 v8, vcc, v14, v8, vcc
	v_add_co_u32_e32 v7, vcc, v7, v9
	v_cvt_f32_f64_e32 v3, v[3:4]
	v_cvt_f32_f64_e32 v4, v[5:6]
	v_addc_co_u32_e32 v8, vcc, v8, v10, vcc
	global_store_dwordx2 v[7:8], v[3:4], off
	global_load_dwordx2 v[9:10], v89, s[8:9] offset:504
	ds_read2_b64 v[3:6], v89 offset0:63 offset1:126
	v_add_co_u32_e32 v7, vcc, s3, v7
	s_waitcnt vmcnt(0) lgkmcnt(0)
	v_mul_f32_e32 v11, v4, v10
	v_mul_f32_e32 v10, v3, v10
	v_fmac_f32_e32 v11, v3, v9
	v_fma_f32 v9, v9, v4, -v10
	v_cvt_f64_f32_e32 v[3:4], v11
	v_cvt_f64_f32_e32 v[9:10], v9
	v_mov_b32_e32 v11, s4
	v_addc_co_u32_e32 v8, vcc, v8, v11, vcc
	v_mul_f64 v[3:4], v[3:4], s[0:1]
	v_mul_f64 v[9:10], v[9:10], s[0:1]
	v_cvt_f32_f64_e32 v3, v[3:4]
	v_cvt_f32_f64_e32 v4, v[9:10]
	global_store_dwordx2 v[7:8], v[3:4], off
	global_load_dwordx2 v[3:4], v89, s[8:9] offset:1008
	v_add_co_u32_e32 v7, vcc, s3, v7
	s_waitcnt vmcnt(0)
	v_mul_f32_e32 v9, v6, v4
	v_mul_f32_e32 v4, v5, v4
	v_fmac_f32_e32 v9, v5, v3
	v_fma_f32 v5, v3, v6, -v4
	v_cvt_f64_f32_e32 v[3:4], v9
	v_cvt_f64_f32_e32 v[5:6], v5
	v_mov_b32_e32 v9, s4
	v_addc_co_u32_e32 v8, vcc, v8, v9, vcc
	v_mul_f64 v[3:4], v[3:4], s[0:1]
	v_mul_f64 v[5:6], v[5:6], s[0:1]
	v_cvt_f32_f64_e32 v3, v[3:4]
	v_cvt_f32_f64_e32 v4, v[5:6]
	global_store_dwordx2 v[7:8], v[3:4], off
	global_load_dwordx2 v[9:10], v89, s[8:9] offset:1512
	ds_read2_b64 v[3:6], v89 offset0:189 offset1:252
	v_add_co_u32_e32 v7, vcc, s3, v7
	s_waitcnt vmcnt(0) lgkmcnt(0)
	v_mul_f32_e32 v11, v4, v10
	v_mul_f32_e32 v10, v3, v10
	v_fmac_f32_e32 v11, v3, v9
	v_fma_f32 v9, v9, v4, -v10
	v_cvt_f64_f32_e32 v[3:4], v11
	v_cvt_f64_f32_e32 v[9:10], v9
	v_mov_b32_e32 v11, s4
	v_addc_co_u32_e32 v8, vcc, v8, v11, vcc
	v_mul_f64 v[3:4], v[3:4], s[0:1]
	v_mul_f64 v[9:10], v[9:10], s[0:1]
	v_cvt_f32_f64_e32 v3, v[3:4]
	v_cvt_f32_f64_e32 v4, v[9:10]
	global_store_dwordx2 v[7:8], v[3:4], off
	global_load_dwordx2 v[3:4], v89, s[8:9] offset:2016
	v_add_co_u32_e32 v7, vcc, s3, v7
	s_waitcnt vmcnt(0)
	v_mul_f32_e32 v9, v6, v4
	v_mul_f32_e32 v4, v5, v4
	v_fmac_f32_e32 v9, v5, v3
	v_fma_f32 v5, v3, v6, -v4
	v_cvt_f64_f32_e32 v[3:4], v9
	v_cvt_f64_f32_e32 v[5:6], v5
	v_mov_b32_e32 v9, s4
	v_addc_co_u32_e32 v8, vcc, v8, v9, vcc
	v_mul_f64 v[3:4], v[3:4], s[0:1]
	v_mul_f64 v[5:6], v[5:6], s[0:1]
	v_cvt_f32_f64_e32 v3, v[3:4]
	v_cvt_f32_f64_e32 v4, v[5:6]
	global_store_dwordx2 v[7:8], v[3:4], off
	global_load_dwordx2 v[9:10], v89, s[8:9] offset:2520
	ds_read2_b64 v[3:6], v2 offset0:59 offset1:122
	v_add_co_u32_e32 v7, vcc, s3, v7
	s_waitcnt vmcnt(0) lgkmcnt(0)
	v_mul_f32_e32 v11, v4, v10
	v_mul_f32_e32 v10, v3, v10
	v_fmac_f32_e32 v11, v3, v9
	v_fma_f32 v9, v9, v4, -v10
	v_cvt_f64_f32_e32 v[3:4], v11
	v_cvt_f64_f32_e32 v[9:10], v9
	v_mov_b32_e32 v11, s4
	v_addc_co_u32_e32 v8, vcc, v8, v11, vcc
	v_mul_f64 v[3:4], v[3:4], s[0:1]
	v_mul_f64 v[9:10], v[9:10], s[0:1]
	v_cvt_f32_f64_e32 v3, v[3:4]
	v_cvt_f32_f64_e32 v4, v[9:10]
	global_store_dwordx2 v[7:8], v[3:4], off
	global_load_dwordx2 v[3:4], v89, s[8:9] offset:3024
	s_waitcnt vmcnt(0)
	v_mul_f32_e32 v9, v6, v4
	v_mul_f32_e32 v4, v5, v4
	v_fmac_f32_e32 v9, v5, v3
	v_fma_f32 v5, v3, v6, -v4
	v_cvt_f64_f32_e32 v[3:4], v9
	v_cvt_f64_f32_e32 v[5:6], v5
	v_mov_b32_e32 v9, s4
	v_mul_f64 v[3:4], v[3:4], s[0:1]
	v_mul_f64 v[5:6], v[5:6], s[0:1]
	v_cvt_f32_f64_e32 v3, v[3:4]
	v_cvt_f32_f64_e32 v4, v[5:6]
	v_add_co_u32_e32 v6, vcc, s3, v7
	v_addc_co_u32_e32 v7, vcc, v8, v9, vcc
	global_store_dwordx2 v[6:7], v[3:4], off
	global_load_dwordx2 v[8:9], v89, s[8:9] offset:3528
	ds_read2_b64 v[2:5], v2 offset0:185 offset1:248
	v_add_co_u32_e32 v6, vcc, s3, v6
	s_waitcnt vmcnt(0) lgkmcnt(0)
	v_mul_f32_e32 v10, v3, v9
	v_mul_f32_e32 v9, v2, v9
	v_fmac_f32_e32 v10, v2, v8
	v_fma_f32 v8, v8, v3, -v9
	v_cvt_f64_f32_e32 v[2:3], v10
	v_cvt_f64_f32_e32 v[8:9], v8
	v_mov_b32_e32 v10, s4
	v_addc_co_u32_e32 v7, vcc, v7, v10, vcc
	v_mul_f64 v[2:3], v[2:3], s[0:1]
	v_mul_f64 v[8:9], v[8:9], s[0:1]
	v_cvt_f32_f64_e32 v2, v[2:3]
	v_cvt_f32_f64_e32 v3, v[8:9]
	v_add_co_u32_e32 v9, vcc, s8, v89
	global_store_dwordx2 v[6:7], v[2:3], off
	global_load_dwordx2 v[2:3], v89, s[8:9] offset:4032
	s_waitcnt vmcnt(0)
	v_mul_f32_e32 v8, v5, v3
	v_mul_f32_e32 v3, v4, v3
	v_fmac_f32_e32 v8, v4, v2
	v_fma_f32 v4, v2, v5, -v3
	v_cvt_f64_f32_e32 v[2:3], v8
	v_cvt_f64_f32_e32 v[4:5], v4
	v_mov_b32_e32 v8, s9
	v_addc_co_u32_e32 v10, vcc, 0, v8, vcc
	v_mul_f64 v[2:3], v[2:3], s[0:1]
	v_mul_f64 v[4:5], v[4:5], s[0:1]
	v_add_co_u32_e32 v8, vcc, s2, v9
	v_addc_co_u32_e32 v9, vcc, 0, v10, vcc
	v_add_co_u32_e32 v6, vcc, s3, v6
	v_cvt_f32_f64_e32 v2, v[2:3]
	v_cvt_f32_f64_e32 v3, v[4:5]
	v_addc_co_u32_e32 v7, vcc, v7, v11, vcc
	global_store_dwordx2 v[6:7], v[2:3], off
	global_load_dwordx2 v[10:11], v[8:9], off offset:440
	ds_read2_b64 v[2:5], v1 offset0:55 offset1:118
	v_add_co_u32_e32 v6, vcc, s3, v6
	s_waitcnt vmcnt(0) lgkmcnt(0)
	v_mul_f32_e32 v12, v3, v11
	v_mul_f32_e32 v11, v2, v11
	v_fmac_f32_e32 v12, v2, v10
	v_fma_f32 v10, v10, v3, -v11
	v_cvt_f64_f32_e32 v[2:3], v12
	v_cvt_f64_f32_e32 v[10:11], v10
	v_mov_b32_e32 v12, s4
	v_addc_co_u32_e32 v7, vcc, v7, v12, vcc
	v_mul_f64 v[2:3], v[2:3], s[0:1]
	v_mul_f64 v[10:11], v[10:11], s[0:1]
	v_cvt_f32_f64_e32 v2, v[2:3]
	v_cvt_f32_f64_e32 v3, v[10:11]
	global_store_dwordx2 v[6:7], v[2:3], off
	global_load_dwordx2 v[2:3], v[8:9], off offset:944
	s_waitcnt vmcnt(0)
	v_mul_f32_e32 v10, v5, v3
	v_mul_f32_e32 v3, v4, v3
	v_fmac_f32_e32 v10, v4, v2
	v_fma_f32 v4, v2, v5, -v3
	v_cvt_f64_f32_e32 v[2:3], v10
	v_cvt_f64_f32_e32 v[4:5], v4
	v_mov_b32_e32 v10, s4
	v_mul_f64 v[2:3], v[2:3], s[0:1]
	v_mul_f64 v[4:5], v[4:5], s[0:1]
	v_cvt_f32_f64_e32 v2, v[2:3]
	v_cvt_f32_f64_e32 v3, v[4:5]
	v_add_co_u32_e32 v5, vcc, s3, v6
	v_addc_co_u32_e32 v6, vcc, v7, v10, vcc
	global_store_dwordx2 v[5:6], v[2:3], off
	global_load_dwordx2 v[10:11], v[8:9], off offset:1448
	ds_read2_b64 v[1:4], v1 offset0:181 offset1:244
	v_add_co_u32_e32 v5, vcc, s3, v5
	s_waitcnt vmcnt(0) lgkmcnt(0)
	v_mul_f32_e32 v7, v2, v11
	v_mul_f32_e32 v11, v1, v11
	v_fmac_f32_e32 v7, v1, v10
	v_fma_f32 v10, v10, v2, -v11
	v_cvt_f64_f32_e32 v[1:2], v7
	v_cvt_f64_f32_e32 v[10:11], v10
	v_mov_b32_e32 v7, s4
	v_addc_co_u32_e32 v6, vcc, v6, v7, vcc
	v_mul_f64 v[1:2], v[1:2], s[0:1]
	v_mul_f64 v[10:11], v[10:11], s[0:1]
	v_cvt_f32_f64_e32 v1, v[1:2]
	v_cvt_f32_f64_e32 v2, v[10:11]
	global_store_dwordx2 v[5:6], v[1:2], off
	global_load_dwordx2 v[1:2], v[8:9], off offset:1952
	v_add_co_u32_e32 v5, vcc, s3, v5
	s_waitcnt vmcnt(0)
	v_mul_f32_e32 v7, v4, v2
	v_mul_f32_e32 v2, v3, v2
	v_fmac_f32_e32 v7, v3, v1
	v_fma_f32 v3, v1, v4, -v2
	v_cvt_f64_f32_e32 v[1:2], v7
	v_cvt_f64_f32_e32 v[3:4], v3
	v_mov_b32_e32 v7, s4
	v_addc_co_u32_e32 v6, vcc, v6, v7, vcc
	v_mul_f64 v[1:2], v[1:2], s[0:1]
	v_mul_f64 v[3:4], v[3:4], s[0:1]
	v_cvt_f32_f64_e32 v1, v[1:2]
	v_cvt_f32_f64_e32 v2, v[3:4]
	global_store_dwordx2 v[5:6], v[1:2], off
	global_load_dwordx2 v[10:11], v[8:9], off offset:2456
	ds_read2_b64 v[1:4], v0 offset0:51 offset1:114
	v_add_co_u32_e32 v5, vcc, s3, v5
	s_waitcnt vmcnt(0) lgkmcnt(0)
	v_mul_f32_e32 v7, v2, v11
	v_mul_f32_e32 v11, v1, v11
	v_fmac_f32_e32 v7, v1, v10
	v_fma_f32 v10, v10, v2, -v11
	v_cvt_f64_f32_e32 v[1:2], v7
	v_cvt_f64_f32_e32 v[10:11], v10
	v_mov_b32_e32 v7, s4
	v_addc_co_u32_e32 v6, vcc, v6, v7, vcc
	v_mul_f64 v[1:2], v[1:2], s[0:1]
	v_mul_f64 v[10:11], v[10:11], s[0:1]
	v_cvt_f32_f64_e32 v1, v[1:2]
	v_cvt_f32_f64_e32 v2, v[10:11]
	global_store_dwordx2 v[5:6], v[1:2], off
	global_load_dwordx2 v[1:2], v[8:9], off offset:2960
	s_waitcnt vmcnt(0)
	v_mul_f32_e32 v7, v4, v2
	v_mul_f32_e32 v2, v3, v2
	v_fmac_f32_e32 v7, v3, v1
	v_fma_f32 v3, v1, v4, -v2
	v_cvt_f64_f32_e32 v[1:2], v7
	v_cvt_f64_f32_e32 v[3:4], v3
	v_mov_b32_e32 v7, s4
	v_mul_f64 v[1:2], v[1:2], s[0:1]
	v_mul_f64 v[3:4], v[3:4], s[0:1]
	v_cvt_f32_f64_e32 v1, v[1:2]
	v_cvt_f32_f64_e32 v2, v[3:4]
	v_add_co_u32_e32 v4, vcc, s3, v5
	v_addc_co_u32_e32 v5, vcc, v6, v7, vcc
	global_store_dwordx2 v[4:5], v[1:2], off
	global_load_dwordx2 v[6:7], v[8:9], off offset:3464
	ds_read2_b64 v[0:3], v0 offset0:177 offset1:240
	v_add_co_u32_e32 v4, vcc, s3, v4
	s_waitcnt vmcnt(0) lgkmcnt(0)
	v_mul_f32_e32 v10, v1, v7
	v_mul_f32_e32 v7, v0, v7
	v_fmac_f32_e32 v10, v0, v6
	v_fma_f32 v6, v6, v1, -v7
	v_cvt_f64_f32_e32 v[0:1], v10
	v_cvt_f64_f32_e32 v[6:7], v6
	v_mov_b32_e32 v10, s4
	v_addc_co_u32_e32 v5, vcc, v5, v10, vcc
	v_mul_f64 v[0:1], v[0:1], s[0:1]
	v_mul_f64 v[6:7], v[6:7], s[0:1]
	v_cvt_f32_f64_e32 v0, v[0:1]
	v_cvt_f32_f64_e32 v1, v[6:7]
	global_store_dwordx2 v[4:5], v[0:1], off
	global_load_dwordx2 v[0:1], v[8:9], off offset:3968
	s_waitcnt vmcnt(0)
	v_mul_f32_e32 v6, v3, v1
	v_mul_f32_e32 v1, v2, v1
	v_fmac_f32_e32 v6, v2, v0
	v_fma_f32 v2, v0, v3, -v1
	v_cvt_f64_f32_e32 v[0:1], v6
	v_cvt_f64_f32_e32 v[2:3], v2
	v_mov_b32_e32 v6, s4
	v_mul_f64 v[0:1], v[0:1], s[0:1]
	v_mul_f64 v[2:3], v[2:3], s[0:1]
	v_cvt_f32_f64_e32 v0, v[0:1]
	v_cvt_f32_f64_e32 v1, v[2:3]
	v_add_co_u32_e32 v2, vcc, s3, v4
	v_addc_co_u32_e32 v3, vcc, v5, v6, vcc
	global_store_dwordx2 v[2:3], v[0:1], off
.LBB0_23:
	s_endpgm
	.section	.rodata,"a",@progbits
	.p2align	6, 0x0
	.amdhsa_kernel bluestein_single_back_len1071_dim1_sp_op_CI_CI
		.amdhsa_group_segment_fixed_size 8568
		.amdhsa_private_segment_fixed_size 0
		.amdhsa_kernarg_size 104
		.amdhsa_user_sgpr_count 6
		.amdhsa_user_sgpr_private_segment_buffer 1
		.amdhsa_user_sgpr_dispatch_ptr 0
		.amdhsa_user_sgpr_queue_ptr 0
		.amdhsa_user_sgpr_kernarg_segment_ptr 1
		.amdhsa_user_sgpr_dispatch_id 0
		.amdhsa_user_sgpr_flat_scratch_init 0
		.amdhsa_user_sgpr_private_segment_size 0
		.amdhsa_uses_dynamic_stack 0
		.amdhsa_system_sgpr_private_segment_wavefront_offset 0
		.amdhsa_system_sgpr_workgroup_id_x 1
		.amdhsa_system_sgpr_workgroup_id_y 0
		.amdhsa_system_sgpr_workgroup_id_z 0
		.amdhsa_system_sgpr_workgroup_info 0
		.amdhsa_system_vgpr_workitem_id 0
		.amdhsa_next_free_vgpr 250
		.amdhsa_next_free_sgpr 22
		.amdhsa_reserve_vcc 1
		.amdhsa_reserve_flat_scratch 0
		.amdhsa_float_round_mode_32 0
		.amdhsa_float_round_mode_16_64 0
		.amdhsa_float_denorm_mode_32 3
		.amdhsa_float_denorm_mode_16_64 3
		.amdhsa_dx10_clamp 1
		.amdhsa_ieee_mode 1
		.amdhsa_fp16_overflow 0
		.amdhsa_exception_fp_ieee_invalid_op 0
		.amdhsa_exception_fp_denorm_src 0
		.amdhsa_exception_fp_ieee_div_zero 0
		.amdhsa_exception_fp_ieee_overflow 0
		.amdhsa_exception_fp_ieee_underflow 0
		.amdhsa_exception_fp_ieee_inexact 0
		.amdhsa_exception_int_div_zero 0
	.end_amdhsa_kernel
	.text
.Lfunc_end0:
	.size	bluestein_single_back_len1071_dim1_sp_op_CI_CI, .Lfunc_end0-bluestein_single_back_len1071_dim1_sp_op_CI_CI
                                        ; -- End function
	.section	.AMDGPU.csdata,"",@progbits
; Kernel info:
; codeLenInByte = 19200
; NumSgprs: 26
; NumVgprs: 250
; ScratchSize: 0
; MemoryBound: 0
; FloatMode: 240
; IeeeMode: 1
; LDSByteSize: 8568 bytes/workgroup (compile time only)
; SGPRBlocks: 3
; VGPRBlocks: 62
; NumSGPRsForWavesPerEU: 26
; NumVGPRsForWavesPerEU: 250
; Occupancy: 1
; WaveLimiterHint : 1
; COMPUTE_PGM_RSRC2:SCRATCH_EN: 0
; COMPUTE_PGM_RSRC2:USER_SGPR: 6
; COMPUTE_PGM_RSRC2:TRAP_HANDLER: 0
; COMPUTE_PGM_RSRC2:TGID_X_EN: 1
; COMPUTE_PGM_RSRC2:TGID_Y_EN: 0
; COMPUTE_PGM_RSRC2:TGID_Z_EN: 0
; COMPUTE_PGM_RSRC2:TIDIG_COMP_CNT: 0
	.type	__hip_cuid_fe9f754fab7321d8,@object ; @__hip_cuid_fe9f754fab7321d8
	.section	.bss,"aw",@nobits
	.globl	__hip_cuid_fe9f754fab7321d8
__hip_cuid_fe9f754fab7321d8:
	.byte	0                               ; 0x0
	.size	__hip_cuid_fe9f754fab7321d8, 1

	.ident	"AMD clang version 19.0.0git (https://github.com/RadeonOpenCompute/llvm-project roc-6.4.0 25133 c7fe45cf4b819c5991fe208aaa96edf142730f1d)"
	.section	".note.GNU-stack","",@progbits
	.addrsig
	.addrsig_sym __hip_cuid_fe9f754fab7321d8
	.amdgpu_metadata
---
amdhsa.kernels:
  - .args:
      - .actual_access:  read_only
        .address_space:  global
        .offset:         0
        .size:           8
        .value_kind:     global_buffer
      - .actual_access:  read_only
        .address_space:  global
        .offset:         8
        .size:           8
        .value_kind:     global_buffer
      - .actual_access:  read_only
        .address_space:  global
        .offset:         16
        .size:           8
        .value_kind:     global_buffer
      - .actual_access:  read_only
        .address_space:  global
        .offset:         24
        .size:           8
        .value_kind:     global_buffer
      - .actual_access:  read_only
        .address_space:  global
        .offset:         32
        .size:           8
        .value_kind:     global_buffer
      - .offset:         40
        .size:           8
        .value_kind:     by_value
      - .address_space:  global
        .offset:         48
        .size:           8
        .value_kind:     global_buffer
      - .address_space:  global
        .offset:         56
        .size:           8
        .value_kind:     global_buffer
      - .address_space:  global
        .offset:         64
        .size:           8
        .value_kind:     global_buffer
      - .address_space:  global
        .offset:         72
        .size:           8
        .value_kind:     global_buffer
      - .offset:         80
        .size:           4
        .value_kind:     by_value
      - .address_space:  global
        .offset:         88
        .size:           8
        .value_kind:     global_buffer
      - .address_space:  global
        .offset:         96
        .size:           8
        .value_kind:     global_buffer
    .group_segment_fixed_size: 8568
    .kernarg_segment_align: 8
    .kernarg_segment_size: 104
    .language:       OpenCL C
    .language_version:
      - 2
      - 0
    .max_flat_workgroup_size: 119
    .name:           bluestein_single_back_len1071_dim1_sp_op_CI_CI
    .private_segment_fixed_size: 0
    .sgpr_count:     26
    .sgpr_spill_count: 0
    .symbol:         bluestein_single_back_len1071_dim1_sp_op_CI_CI.kd
    .uniform_work_group_size: 1
    .uses_dynamic_stack: false
    .vgpr_count:     250
    .vgpr_spill_count: 0
    .wavefront_size: 64
amdhsa.target:   amdgcn-amd-amdhsa--gfx906
amdhsa.version:
  - 1
  - 2
...

	.end_amdgpu_metadata
